;; amdgpu-corpus repo=ROCm/rocFFT kind=compiled arch=gfx1201 opt=O3
	.text
	.amdgcn_target "amdgcn-amd-amdhsa--gfx1201"
	.amdhsa_code_object_version 6
	.protected	fft_rtc_back_len884_factors_13_4_17_wgs_204_tpt_68_halfLds_sp_op_CI_CI_unitstride_sbrr_dirReg ; -- Begin function fft_rtc_back_len884_factors_13_4_17_wgs_204_tpt_68_halfLds_sp_op_CI_CI_unitstride_sbrr_dirReg
	.globl	fft_rtc_back_len884_factors_13_4_17_wgs_204_tpt_68_halfLds_sp_op_CI_CI_unitstride_sbrr_dirReg
	.p2align	8
	.type	fft_rtc_back_len884_factors_13_4_17_wgs_204_tpt_68_halfLds_sp_op_CI_CI_unitstride_sbrr_dirReg,@function
fft_rtc_back_len884_factors_13_4_17_wgs_204_tpt_68_halfLds_sp_op_CI_CI_unitstride_sbrr_dirReg: ; @fft_rtc_back_len884_factors_13_4_17_wgs_204_tpt_68_halfLds_sp_op_CI_CI_unitstride_sbrr_dirReg
; %bb.0:
	s_load_b128 s[8:11], s[0:1], 0x0
	v_mul_u32_u24_e32 v1, 0x3c4, v0
	s_clause 0x1
	s_load_b128 s[4:7], s[0:1], 0x58
	s_load_b128 s[12:15], s[0:1], 0x18
	s_delay_alu instid0(VALU_DEP_1) | instskip(SKIP_3) | instid1(VALU_DEP_2)
	v_lshrrev_b32_e32 v2, 16, v1
	v_mov_b32_e32 v1, 0
	v_mov_b32_e32 v23, 0
	v_mov_b32_e32 v24, 0
	v_mov_b32_e32 v16, v23
	v_mad_co_u64_u32 v[21:22], null, ttmp9, 3, v[2:3]
	s_delay_alu instid0(VALU_DEP_3) | instskip(NEXT) | instid1(VALU_DEP_1)
	v_dual_mov_b32 v22, v1 :: v_dual_mov_b32 v17, v24
	v_dual_mov_b32 v19, v21 :: v_dual_mov_b32 v20, v22
	s_wait_kmcnt 0x0
	v_cmp_lt_u64_e64 s2, s[10:11], 2
	s_delay_alu instid0(VALU_DEP_1)
	s_and_b32 vcc_lo, exec_lo, s2
	s_cbranch_vccnz .LBB0_8
; %bb.1:
	s_load_b64 s[2:3], s[0:1], 0x10
	v_mov_b32_e32 v23, 0
	v_dual_mov_b32 v24, 0 :: v_dual_mov_b32 v3, v21
	v_mov_b32_e32 v4, v22
	s_delay_alu instid0(VALU_DEP_3) | instskip(SKIP_1) | instid1(VALU_DEP_3)
	v_mov_b32_e32 v16, v23
	s_add_nc_u64 s[16:17], s[14:15], 8
	v_mov_b32_e32 v17, v24
	s_add_nc_u64 s[18:19], s[12:13], 8
	s_mov_b64 s[20:21], 1
	s_wait_kmcnt 0x0
	s_add_nc_u64 s[22:23], s[2:3], 8
	s_mov_b32 s3, 0
.LBB0_2:                                ; =>This Inner Loop Header: Depth=1
	s_load_b64 s[24:25], s[22:23], 0x0
                                        ; implicit-def: $vgpr19_vgpr20
	s_mov_b32 s2, exec_lo
	s_wait_kmcnt 0x0
	v_or_b32_e32 v2, s25, v4
	s_delay_alu instid0(VALU_DEP_1)
	v_cmpx_ne_u64_e32 0, v[1:2]
	s_wait_alu 0xfffe
	s_xor_b32 s26, exec_lo, s2
	s_cbranch_execz .LBB0_4
; %bb.3:                                ;   in Loop: Header=BB0_2 Depth=1
	s_cvt_f32_u32 s2, s24
	s_cvt_f32_u32 s27, s25
	s_sub_nc_u64 s[30:31], 0, s[24:25]
	s_wait_alu 0xfffe
	s_delay_alu instid0(SALU_CYCLE_1) | instskip(SKIP_1) | instid1(SALU_CYCLE_2)
	s_fmamk_f32 s2, s27, 0x4f800000, s2
	s_wait_alu 0xfffe
	v_s_rcp_f32 s2, s2
	s_delay_alu instid0(TRANS32_DEP_1) | instskip(SKIP_1) | instid1(SALU_CYCLE_2)
	s_mul_f32 s2, s2, 0x5f7ffffc
	s_wait_alu 0xfffe
	s_mul_f32 s27, s2, 0x2f800000
	s_wait_alu 0xfffe
	s_delay_alu instid0(SALU_CYCLE_2) | instskip(SKIP_1) | instid1(SALU_CYCLE_2)
	s_trunc_f32 s27, s27
	s_wait_alu 0xfffe
	s_fmamk_f32 s2, s27, 0xcf800000, s2
	s_cvt_u32_f32 s29, s27
	s_wait_alu 0xfffe
	s_delay_alu instid0(SALU_CYCLE_1) | instskip(SKIP_1) | instid1(SALU_CYCLE_2)
	s_cvt_u32_f32 s28, s2
	s_wait_alu 0xfffe
	s_mul_u64 s[34:35], s[30:31], s[28:29]
	s_wait_alu 0xfffe
	s_mul_hi_u32 s37, s28, s35
	s_mul_i32 s36, s28, s35
	s_mul_hi_u32 s2, s28, s34
	s_mul_i32 s33, s29, s34
	s_wait_alu 0xfffe
	s_add_nc_u64 s[36:37], s[2:3], s[36:37]
	s_mul_hi_u32 s27, s29, s34
	s_mul_hi_u32 s38, s29, s35
	s_add_co_u32 s2, s36, s33
	s_wait_alu 0xfffe
	s_add_co_ci_u32 s2, s37, s27
	s_mul_i32 s34, s29, s35
	s_add_co_ci_u32 s35, s38, 0
	s_wait_alu 0xfffe
	s_add_nc_u64 s[34:35], s[2:3], s[34:35]
	s_wait_alu 0xfffe
	v_add_co_u32 v2, s2, s28, s34
	s_delay_alu instid0(VALU_DEP_1) | instskip(SKIP_1) | instid1(VALU_DEP_1)
	s_cmp_lg_u32 s2, 0
	s_add_co_ci_u32 s29, s29, s35
	v_readfirstlane_b32 s28, v2
	s_wait_alu 0xfffe
	s_delay_alu instid0(VALU_DEP_1)
	s_mul_u64 s[30:31], s[30:31], s[28:29]
	s_wait_alu 0xfffe
	s_mul_hi_u32 s35, s28, s31
	s_mul_i32 s34, s28, s31
	s_mul_hi_u32 s2, s28, s30
	s_mul_i32 s33, s29, s30
	s_wait_alu 0xfffe
	s_add_nc_u64 s[34:35], s[2:3], s[34:35]
	s_mul_hi_u32 s27, s29, s30
	s_mul_hi_u32 s28, s29, s31
	s_wait_alu 0xfffe
	s_add_co_u32 s2, s34, s33
	s_add_co_ci_u32 s2, s35, s27
	s_mul_i32 s30, s29, s31
	s_add_co_ci_u32 s31, s28, 0
	s_wait_alu 0xfffe
	s_add_nc_u64 s[30:31], s[2:3], s[30:31]
	s_wait_alu 0xfffe
	v_add_co_u32 v2, s2, v2, s30
	s_delay_alu instid0(VALU_DEP_1) | instskip(SKIP_1) | instid1(VALU_DEP_1)
	s_cmp_lg_u32 s2, 0
	s_add_co_ci_u32 s2, s29, s31
	v_mul_hi_u32 v11, v3, v2
	s_wait_alu 0xfffe
	v_mad_co_u64_u32 v[5:6], null, v3, s2, 0
	v_mad_co_u64_u32 v[7:8], null, v4, v2, 0
	;; [unrolled: 1-line block ×3, first 2 shown]
	s_delay_alu instid0(VALU_DEP_3) | instskip(SKIP_1) | instid1(VALU_DEP_4)
	v_add_co_u32 v2, vcc_lo, v11, v5
	s_wait_alu 0xfffd
	v_add_co_ci_u32_e32 v5, vcc_lo, 0, v6, vcc_lo
	s_delay_alu instid0(VALU_DEP_2) | instskip(SKIP_1) | instid1(VALU_DEP_2)
	v_add_co_u32 v2, vcc_lo, v2, v7
	s_wait_alu 0xfffd
	v_add_co_ci_u32_e32 v2, vcc_lo, v5, v8, vcc_lo
	s_wait_alu 0xfffd
	v_add_co_ci_u32_e32 v5, vcc_lo, 0, v10, vcc_lo
	s_delay_alu instid0(VALU_DEP_2) | instskip(SKIP_1) | instid1(VALU_DEP_2)
	v_add_co_u32 v2, vcc_lo, v2, v9
	s_wait_alu 0xfffd
	v_add_co_ci_u32_e32 v7, vcc_lo, 0, v5, vcc_lo
	s_delay_alu instid0(VALU_DEP_2) | instskip(SKIP_1) | instid1(VALU_DEP_3)
	v_mul_lo_u32 v8, s25, v2
	v_mad_co_u64_u32 v[5:6], null, s24, v2, 0
	v_mul_lo_u32 v9, s24, v7
	s_delay_alu instid0(VALU_DEP_2) | instskip(NEXT) | instid1(VALU_DEP_2)
	v_sub_co_u32 v5, vcc_lo, v3, v5
	v_add3_u32 v6, v6, v9, v8
	s_delay_alu instid0(VALU_DEP_1) | instskip(SKIP_1) | instid1(VALU_DEP_1)
	v_sub_nc_u32_e32 v8, v4, v6
	s_wait_alu 0xfffd
	v_subrev_co_ci_u32_e64 v8, s2, s25, v8, vcc_lo
	v_add_co_u32 v9, s2, v2, 2
	s_wait_alu 0xf1ff
	v_add_co_ci_u32_e64 v10, s2, 0, v7, s2
	v_sub_co_u32 v11, s2, v5, s24
	v_sub_co_ci_u32_e32 v6, vcc_lo, v4, v6, vcc_lo
	s_wait_alu 0xf1ff
	v_subrev_co_ci_u32_e64 v8, s2, 0, v8, s2
	s_delay_alu instid0(VALU_DEP_3) | instskip(NEXT) | instid1(VALU_DEP_3)
	v_cmp_le_u32_e32 vcc_lo, s24, v11
	v_cmp_eq_u32_e64 s2, s25, v6
	s_wait_alu 0xfffd
	v_cndmask_b32_e64 v11, 0, -1, vcc_lo
	v_cmp_le_u32_e32 vcc_lo, s25, v8
	s_wait_alu 0xfffd
	v_cndmask_b32_e64 v12, 0, -1, vcc_lo
	v_cmp_le_u32_e32 vcc_lo, s24, v5
	;; [unrolled: 3-line block ×3, first 2 shown]
	s_wait_alu 0xfffd
	v_cndmask_b32_e64 v13, 0, -1, vcc_lo
	v_cmp_eq_u32_e32 vcc_lo, s25, v8
	s_wait_alu 0xf1ff
	s_delay_alu instid0(VALU_DEP_2)
	v_cndmask_b32_e64 v5, v13, v5, s2
	s_wait_alu 0xfffd
	v_cndmask_b32_e32 v8, v12, v11, vcc_lo
	v_add_co_u32 v11, vcc_lo, v2, 1
	s_wait_alu 0xfffd
	v_add_co_ci_u32_e32 v12, vcc_lo, 0, v7, vcc_lo
	s_delay_alu instid0(VALU_DEP_3) | instskip(SKIP_2) | instid1(VALU_DEP_3)
	v_cmp_ne_u32_e32 vcc_lo, 0, v8
	s_wait_alu 0xfffd
	v_cndmask_b32_e32 v8, v11, v9, vcc_lo
	v_cndmask_b32_e32 v6, v12, v10, vcc_lo
	v_cmp_ne_u32_e32 vcc_lo, 0, v5
	s_wait_alu 0xfffd
	s_delay_alu instid0(VALU_DEP_2)
	v_dual_cndmask_b32 v19, v2, v8 :: v_dual_cndmask_b32 v20, v7, v6
.LBB0_4:                                ;   in Loop: Header=BB0_2 Depth=1
	s_wait_alu 0xfffe
	s_and_not1_saveexec_b32 s2, s26
	s_cbranch_execz .LBB0_6
; %bb.5:                                ;   in Loop: Header=BB0_2 Depth=1
	v_cvt_f32_u32_e32 v2, s24
	s_sub_co_i32 s26, 0, s24
	v_mov_b32_e32 v20, v1
	s_delay_alu instid0(VALU_DEP_2) | instskip(NEXT) | instid1(TRANS32_DEP_1)
	v_rcp_iflag_f32_e32 v2, v2
	v_mul_f32_e32 v2, 0x4f7ffffe, v2
	s_delay_alu instid0(VALU_DEP_1) | instskip(SKIP_1) | instid1(VALU_DEP_1)
	v_cvt_u32_f32_e32 v2, v2
	s_wait_alu 0xfffe
	v_mul_lo_u32 v5, s26, v2
	s_delay_alu instid0(VALU_DEP_1) | instskip(NEXT) | instid1(VALU_DEP_1)
	v_mul_hi_u32 v5, v2, v5
	v_add_nc_u32_e32 v2, v2, v5
	s_delay_alu instid0(VALU_DEP_1) | instskip(NEXT) | instid1(VALU_DEP_1)
	v_mul_hi_u32 v2, v3, v2
	v_mul_lo_u32 v5, v2, s24
	v_add_nc_u32_e32 v6, 1, v2
	s_delay_alu instid0(VALU_DEP_2) | instskip(NEXT) | instid1(VALU_DEP_1)
	v_sub_nc_u32_e32 v5, v3, v5
	v_subrev_nc_u32_e32 v7, s24, v5
	v_cmp_le_u32_e32 vcc_lo, s24, v5
	s_wait_alu 0xfffd
	s_delay_alu instid0(VALU_DEP_2) | instskip(NEXT) | instid1(VALU_DEP_1)
	v_dual_cndmask_b32 v5, v5, v7 :: v_dual_cndmask_b32 v2, v2, v6
	v_cmp_le_u32_e32 vcc_lo, s24, v5
	s_delay_alu instid0(VALU_DEP_2) | instskip(SKIP_1) | instid1(VALU_DEP_1)
	v_add_nc_u32_e32 v6, 1, v2
	s_wait_alu 0xfffd
	v_cndmask_b32_e32 v19, v2, v6, vcc_lo
.LBB0_6:                                ;   in Loop: Header=BB0_2 Depth=1
	s_wait_alu 0xfffe
	s_or_b32 exec_lo, exec_lo, s2
	v_mul_lo_u32 v2, v20, s24
	s_delay_alu instid0(VALU_DEP_2)
	v_mul_lo_u32 v7, v19, s25
	s_load_b64 s[26:27], s[18:19], 0x0
	v_mad_co_u64_u32 v[5:6], null, v19, s24, 0
	s_load_b64 s[24:25], s[16:17], 0x0
	s_add_nc_u64 s[20:21], s[20:21], 1
	s_add_nc_u64 s[16:17], s[16:17], 8
	s_wait_alu 0xfffe
	v_cmp_ge_u64_e64 s2, s[20:21], s[10:11]
	s_add_nc_u64 s[18:19], s[18:19], 8
	s_add_nc_u64 s[22:23], s[22:23], 8
	v_add3_u32 v2, v6, v7, v2
	v_sub_co_u32 v3, vcc_lo, v3, v5
	s_wait_alu 0xfffd
	s_delay_alu instid0(VALU_DEP_2) | instskip(SKIP_2) | instid1(VALU_DEP_1)
	v_sub_co_ci_u32_e32 v2, vcc_lo, v4, v2, vcc_lo
	s_and_b32 vcc_lo, exec_lo, s2
	s_wait_kmcnt 0x0
	v_mul_lo_u32 v4, s26, v2
	v_mul_lo_u32 v5, s27, v3
	v_mad_co_u64_u32 v[23:24], null, s26, v3, v[23:24]
	v_mul_lo_u32 v2, s24, v2
	v_mul_lo_u32 v6, s25, v3
	v_mad_co_u64_u32 v[16:17], null, s24, v3, v[16:17]
	s_delay_alu instid0(VALU_DEP_4) | instskip(NEXT) | instid1(VALU_DEP_2)
	v_add3_u32 v24, v5, v24, v4
	v_add3_u32 v17, v6, v17, v2
	s_wait_alu 0xfffe
	s_cbranch_vccnz .LBB0_8
; %bb.7:                                ;   in Loop: Header=BB0_2 Depth=1
	v_dual_mov_b32 v3, v19 :: v_dual_mov_b32 v4, v20
	s_branch .LBB0_2
.LBB0_8:
	s_load_b64 s[0:1], s[0:1], 0x28
	v_mul_hi_u32 v2, 0x3c3c3c4, v0
	s_lshl_b64 s[10:11], s[10:11], 3
                                        ; implicit-def: $sgpr2_sgpr3
                                        ; implicit-def: $vgpr18
	s_wait_kmcnt 0x0
	v_cmp_gt_u64_e32 vcc_lo, s[0:1], v[19:20]
	v_cmp_le_u64_e64 s0, s[0:1], v[19:20]
	s_delay_alu instid0(VALU_DEP_1)
	s_and_saveexec_b32 s1, s0
	s_wait_alu 0xfffe
	s_xor_b32 s0, exec_lo, s1
; %bb.9:
	v_mul_u32_u24_e32 v1, 0x44, v2
	s_mov_b64 s[2:3], 0
                                        ; implicit-def: $vgpr2
                                        ; implicit-def: $vgpr23_vgpr24
	s_delay_alu instid0(VALU_DEP_1)
	v_sub_nc_u32_e32 v18, v0, v1
                                        ; implicit-def: $vgpr0
; %bb.10:
	s_wait_alu 0xfffe
	s_or_saveexec_b32 s1, s0
	v_dual_mov_b32 v13, s3 :: v_dual_mov_b32 v12, s2
	s_add_nc_u64 s[2:3], s[14:15], s[10:11]
                                        ; implicit-def: $vgpr44
                                        ; implicit-def: $vgpr42
                                        ; implicit-def: $vgpr15
                                        ; implicit-def: $vgpr9
                                        ; implicit-def: $vgpr5
                                        ; implicit-def: $vgpr1
                                        ; implicit-def: $vgpr3
                                        ; implicit-def: $vgpr7
                                        ; implicit-def: $vgpr11
                                        ; implicit-def: $vgpr36
                                        ; implicit-def: $vgpr38
                                        ; implicit-def: $vgpr40
	s_wait_alu 0xfffe
	s_xor_b32 exec_lo, exec_lo, s1
	s_cbranch_execz .LBB0_12
; %bb.11:
	s_add_nc_u64 s[10:11], s[12:13], s[10:11]
	s_load_b64 s[10:11], s[10:11], 0x0
	s_wait_kmcnt 0x0
	v_mul_lo_u32 v1, s11, v19
	v_mul_lo_u32 v5, s10, v20
	v_mad_co_u64_u32 v[3:4], null, s10, v19, 0
	s_delay_alu instid0(VALU_DEP_1) | instskip(SKIP_1) | instid1(VALU_DEP_2)
	v_add3_u32 v4, v4, v5, v1
	v_mul_u32_u24_e32 v5, 0x44, v2
	v_lshlrev_b64_e32 v[1:2], 3, v[3:4]
	v_lshlrev_b64_e32 v[3:4], 3, v[23:24]
	s_delay_alu instid0(VALU_DEP_3) | instskip(NEXT) | instid1(VALU_DEP_3)
	v_sub_nc_u32_e32 v18, v0, v5
	v_add_co_u32 v0, s0, s4, v1
	s_wait_alu 0xf1ff
	s_delay_alu instid0(VALU_DEP_4) | instskip(NEXT) | instid1(VALU_DEP_3)
	v_add_co_ci_u32_e64 v1, s0, s5, v2, s0
	v_lshlrev_b32_e32 v2, 3, v18
	s_delay_alu instid0(VALU_DEP_3) | instskip(SKIP_1) | instid1(VALU_DEP_3)
	v_add_co_u32 v0, s0, v0, v3
	s_wait_alu 0xf1ff
	v_add_co_ci_u32_e64 v1, s0, v1, v4, s0
	s_delay_alu instid0(VALU_DEP_2) | instskip(SKIP_1) | instid1(VALU_DEP_2)
	v_add_co_u32 v22, s0, v0, v2
	s_wait_alu 0xf1ff
	v_add_co_ci_u32_e64 v23, s0, 0, v1, s0
	s_clause 0xc
	global_load_b64 v[12:13], v[22:23], off
	global_load_b64 v[43:44], v[22:23], off offset:544
	global_load_b64 v[41:42], v[22:23], off offset:1088
	;; [unrolled: 1-line block ×12, first 2 shown]
.LBB0_12:
	s_or_b32 exec_lo, exec_lo, s1
	s_wait_loadcnt 0x0
	v_dual_sub_f32 v24, v44, v38 :: v_dual_add_f32 v25, v43, v37
	v_dual_add_f32 v26, v41, v39 :: v_dual_sub_f32 v27, v42, v40
	v_add_f32_e32 v22, v43, v12
	s_delay_alu instid0(VALU_DEP_3) | instskip(SKIP_2) | instid1(VALU_DEP_3)
	v_mul_f32_e32 v29, 0xbf52af12, v24
	v_mul_hi_u32 v23, 0xaaaaaaab, v21
	s_load_b64 s[2:3], s[2:3], 0x0
	v_dual_mul_f32 v33, 0xbf52af12, v27 :: v_dual_add_f32 v22, v41, v22
	s_delay_alu instid0(VALU_DEP_3)
	v_fmamk_f32 v46, v25, 0x3f116cb1, v29
	v_fma_f32 v29, 0x3f116cb1, v25, -v29
	v_mul_f32_e32 v31, 0xbf6f5d39, v24
	v_cmp_gt_u32_e64 s0, 17, v18
	v_add_f32_e32 v22, v14, v22
	v_lshrrev_b32_e32 v23, 1, v23
	v_add_f32_e32 v29, v29, v12
	v_mul_f32_e32 v30, 0xbf7e222b, v24
	v_fmamk_f32 v48, v25, 0xbeb58ec6, v31
	v_add_f32_e32 v22, v8, v22
	v_fma_f32 v31, 0xbeb58ec6, v25, -v31
	v_lshl_add_u32 v23, v23, 1, v23
	v_fmamk_f32 v47, v25, 0x3df6dbef, v30
	v_fma_f32 v30, 0x3df6dbef, v25, -v30
	s_delay_alu instid0(VALU_DEP_4) | instskip(NEXT) | instid1(VALU_DEP_4)
	v_dual_add_f32 v22, v4, v22 :: v_dual_add_f32 v31, v31, v12
	v_sub_nc_u32_e32 v21, v21, v23
	s_delay_alu instid0(VALU_DEP_4) | instskip(SKIP_1) | instid1(VALU_DEP_4)
	v_add_f32_e32 v47, v47, v12
	v_mul_f32_e32 v32, 0xbf29c268, v24
	v_add_f32_e32 v22, v0, v22
	v_add_f32_e32 v30, v30, v12
	v_mul_u32_u24_e32 v51, 0x374, v21
	s_delay_alu instid0(VALU_DEP_3) | instskip(SKIP_1) | instid1(VALU_DEP_2)
	v_dual_fmamk_f32 v49, v25, 0xbf3f9e67, v32 :: v_dual_add_f32 v22, v2, v22
	v_fma_f32 v32, 0xbf3f9e67, v25, -v32
	v_dual_add_f32 v49, v49, v12 :: v_dual_add_f32 v22, v6, v22
	s_delay_alu instid0(VALU_DEP_1) | instskip(NEXT) | instid1(VALU_DEP_1)
	v_dual_add_f32 v23, v32, v12 :: v_dual_add_f32 v22, v10, v22
	v_add_f32_e32 v22, v35, v22
	s_delay_alu instid0(VALU_DEP_1) | instskip(SKIP_1) | instid1(VALU_DEP_2)
	v_add_f32_e32 v22, v39, v22
	v_mul_f32_e32 v28, 0xbeedf032, v24
	v_dual_mul_f32 v24, 0xbe750f2a, v24 :: v_dual_add_f32 v21, v37, v22
	s_delay_alu instid0(VALU_DEP_2) | instskip(SKIP_2) | instid1(VALU_DEP_4)
	v_fmamk_f32 v45, v25, 0x3f62ad3f, v28
	v_mul_f32_e32 v34, 0xbf6f5d39, v27
	v_fma_f32 v28, 0x3f62ad3f, v25, -v28
	v_fmamk_f32 v50, v25, 0xbf788fa5, v24
	v_fma_f32 v24, 0xbf788fa5, v25, -v24
	v_fmamk_f32 v25, v26, 0x3f116cb1, v33
	v_add_f32_e32 v45, v45, v12
	v_add_f32_e32 v28, v28, v12
	v_fma_f32 v33, 0x3f116cb1, v26, -v33
	s_delay_alu instid0(VALU_DEP_3) | instskip(SKIP_1) | instid1(VALU_DEP_3)
	v_dual_add_f32 v22, v25, v45 :: v_dual_mul_f32 v25, 0xbe750f2a, v27
	v_add_f32_e32 v48, v48, v12
	v_dual_add_f32 v28, v33, v28 :: v_dual_mul_f32 v33, 0x3f29c268, v27
	s_delay_alu instid0(VALU_DEP_3) | instskip(SKIP_1) | instid1(VALU_DEP_2)
	v_fmamk_f32 v45, v26, 0xbf788fa5, v25
	v_fma_f32 v25, 0xbf788fa5, v26, -v25
	v_dual_add_f32 v46, v46, v12 :: v_dual_add_f32 v45, v45, v47
	s_delay_alu instid0(VALU_DEP_2)
	v_add_f32_e32 v25, v25, v30
	v_add_f32_e32 v47, v14, v35
	;; [unrolled: 1-line block ×4, first 2 shown]
	v_fmamk_f32 v24, v26, 0xbeb58ec6, v34
	v_fma_f32 v34, 0xbeb58ec6, v26, -v34
	s_delay_alu instid0(VALU_DEP_1) | instskip(SKIP_3) | instid1(VALU_DEP_3)
	v_dual_add_f32 v24, v24, v46 :: v_dual_add_f32 v29, v34, v29
	v_fmamk_f32 v34, v26, 0xbf3f9e67, v33
	v_fma_f32 v33, 0xbf3f9e67, v26, -v33
	v_mul_f32_e32 v46, 0x3f7e222b, v27
	v_dual_mul_f32 v27, 0x3eedf032, v27 :: v_dual_add_f32 v30, v34, v48
	s_delay_alu instid0(VALU_DEP_3) | instskip(NEXT) | instid1(VALU_DEP_3)
	v_add_f32_e32 v31, v33, v31
	v_dual_sub_f32 v33, v15, v36 :: v_dual_fmamk_f32 v34, v26, 0x3df6dbef, v46
	v_fma_f32 v46, 0x3df6dbef, v26, -v46
	s_delay_alu instid0(VALU_DEP_2) | instskip(NEXT) | instid1(VALU_DEP_3)
	v_mul_f32_e32 v48, 0xbf7e222b, v33
	v_add_f32_e32 v34, v34, v49
	v_fmamk_f32 v49, v26, 0x3f62ad3f, v27
	v_fma_f32 v26, 0x3f62ad3f, v26, -v27
	v_add_f32_e32 v23, v46, v23
	v_fmamk_f32 v27, v47, 0x3df6dbef, v48
	v_mul_f32_e32 v46, 0xbe750f2a, v33
	s_delay_alu instid0(VALU_DEP_4) | instskip(SKIP_1) | instid1(VALU_DEP_4)
	v_add_f32_e32 v12, v26, v12
	v_fma_f32 v26, 0x3df6dbef, v47, -v48
	v_add_f32_e32 v22, v27, v22
	s_delay_alu instid0(VALU_DEP_4)
	v_fmamk_f32 v27, v47, 0xbf788fa5, v46
	v_mul_f32_e32 v48, 0x3f6f5d39, v33
	v_fma_f32 v46, 0xbf788fa5, v47, -v46
	v_add_f32_e32 v26, v26, v28
	v_mul_f32_e32 v28, 0x3eedf032, v33
	v_add_f32_e32 v32, v49, v32
	v_add_f32_e32 v24, v27, v24
	v_fmamk_f32 v27, v47, 0xbeb58ec6, v48
	v_add_f32_e32 v29, v46, v29
	v_fma_f32 v46, 0xbeb58ec6, v47, -v48
	v_fmamk_f32 v48, v47, 0x3f62ad3f, v28
	v_fma_f32 v28, 0x3f62ad3f, v47, -v28
	v_add_f32_e32 v27, v27, v45
	v_mul_f32_e32 v45, 0xbf52af12, v33
	v_add_f32_e32 v25, v46, v25
	s_delay_alu instid0(VALU_DEP_4) | instskip(SKIP_1) | instid1(VALU_DEP_4)
	v_dual_mul_f32 v33, 0xbf29c268, v33 :: v_dual_add_f32 v28, v28, v31
	v_dual_sub_f32 v31, v9, v11 :: v_dual_add_f32 v30, v48, v30
	v_fmamk_f32 v46, v47, 0x3f116cb1, v45
	v_fma_f32 v45, 0x3f116cb1, v47, -v45
	s_delay_alu instid0(VALU_DEP_3) | instskip(NEXT) | instid1(VALU_DEP_2)
	v_dual_add_f32 v48, v8, v10 :: v_dual_mul_f32 v49, 0xbf6f5d39, v31
	v_dual_add_f32 v34, v46, v34 :: v_dual_add_f32 v23, v45, v23
	v_fmamk_f32 v46, v47, 0xbf3f9e67, v33
	v_fma_f32 v33, 0xbf3f9e67, v47, -v33
	s_delay_alu instid0(VALU_DEP_4) | instskip(NEXT) | instid1(VALU_DEP_2)
	v_fmamk_f32 v45, v48, 0xbeb58ec6, v49
	v_dual_mul_f32 v47, 0x3f29c268, v31 :: v_dual_add_f32 v12, v33, v12
	s_delay_alu instid0(VALU_DEP_1) | instskip(SKIP_1) | instid1(VALU_DEP_1)
	v_dual_add_f32 v22, v45, v22 :: v_dual_fmamk_f32 v33, v48, 0xbf3f9e67, v47
	v_dual_mul_f32 v45, 0x3eedf032, v31 :: v_dual_add_f32 v32, v46, v32
	v_dual_add_f32 v24, v33, v24 :: v_dual_fmamk_f32 v33, v48, 0x3f62ad3f, v45
	s_delay_alu instid0(VALU_DEP_1) | instskip(SKIP_3) | instid1(VALU_DEP_1)
	v_add_f32_e32 v27, v33, v27
	v_mul_f32_e32 v33, 0x3e750f2a, v31
	v_fma_f32 v46, 0xbeb58ec6, v48, -v49
	v_fma_f32 v45, 0x3f62ad3f, v48, -v45
	v_add_f32_e32 v25, v45, v25
	s_delay_alu instid0(VALU_DEP_3) | instskip(SKIP_3) | instid1(VALU_DEP_4)
	v_dual_sub_f32 v45, v5, v7 :: v_dual_add_f32 v26, v46, v26
	v_fma_f32 v46, 0xbf3f9e67, v48, -v47
	v_mul_f32_e32 v47, 0xbf7e222b, v31
	v_mul_f32_e32 v31, 0x3f52af12, v31
	;; [unrolled: 1-line block ×3, first 2 shown]
	s_delay_alu instid0(VALU_DEP_3) | instskip(SKIP_1) | instid1(VALU_DEP_4)
	v_dual_add_f32 v29, v46, v29 :: v_dual_fmamk_f32 v46, v48, 0x3df6dbef, v47
	v_fma_f32 v47, 0x3df6dbef, v48, -v47
	v_fmamk_f32 v50, v48, 0x3f116cb1, v31
	v_fma_f32 v31, 0x3f116cb1, v48, -v31
	s_delay_alu instid0(VALU_DEP_3) | instskip(NEXT) | instid1(VALU_DEP_2)
	v_dual_add_f32 v28, v47, v28 :: v_dual_add_f32 v47, v4, v6
	v_dual_add_f32 v12, v31, v12 :: v_dual_mul_f32 v31, 0xbf52af12, v45
	v_add_f32_e32 v30, v46, v30
	v_fmamk_f32 v46, v48, 0xbf788fa5, v33
	v_fma_f32 v33, 0xbf788fa5, v48, -v33
	v_fma_f32 v48, 0xbf3f9e67, v47, -v49
	s_delay_alu instid0(VALU_DEP_2) | instskip(SKIP_2) | instid1(VALU_DEP_4)
	v_dual_add_f32 v34, v46, v34 :: v_dual_add_f32 v23, v33, v23
	v_fmamk_f32 v33, v47, 0xbf3f9e67, v49
	v_mul_f32_e32 v46, 0x3f7e222b, v45
	v_add_f32_e32 v26, v48, v26
	v_mul_f32_e32 v48, 0x3e750f2a, v45
	s_delay_alu instid0(VALU_DEP_4) | instskip(NEXT) | instid1(VALU_DEP_4)
	v_dual_fmamk_f32 v49, v47, 0x3f116cb1, v31 :: v_dual_add_f32 v22, v33, v22
	v_fmamk_f32 v33, v47, 0x3df6dbef, v46
	v_fma_f32 v46, 0x3df6dbef, v47, -v46
	v_fma_f32 v31, 0x3f116cb1, v47, -v31
	s_delay_alu instid0(VALU_DEP_3) | instskip(NEXT) | instid1(VALU_DEP_3)
	v_dual_add_f32 v24, v33, v24 :: v_dual_fmamk_f32 v33, v47, 0xbf788fa5, v48
	v_add_f32_e32 v29, v46, v29
	s_delay_alu instid0(VALU_DEP_3) | instskip(NEXT) | instid1(VALU_DEP_3)
	v_add_f32_e32 v25, v31, v25
	v_dual_mul_f32 v31, 0x3eedf032, v45 :: v_dual_add_f32 v30, v33, v30
	v_mul_f32_e32 v33, 0xbf6f5d39, v45
	v_dual_sub_f32 v45, v1, v3 :: v_dual_add_f32 v32, v50, v32
	v_add_f32_e32 v46, v49, v27
	v_fma_f32 v27, 0xbf788fa5, v47, -v48
	s_delay_alu instid0(VALU_DEP_4) | instskip(NEXT) | instid1(VALU_DEP_2)
	v_dual_add_f32 v49, v0, v2 :: v_dual_fmamk_f32 v48, v47, 0xbeb58ec6, v33
	v_add_f32_e32 v28, v27, v28
	v_fmamk_f32 v27, v47, 0x3f62ad3f, v31
	v_fma_f32 v31, 0x3f62ad3f, v47, -v31
	s_delay_alu instid0(VALU_DEP_2) | instskip(NEXT) | instid1(VALU_DEP_2)
	v_add_f32_e32 v34, v27, v34
	v_dual_mul_f32 v50, 0xbe750f2a, v45 :: v_dual_add_f32 v23, v31, v23
	v_fma_f32 v27, 0xbeb58ec6, v47, -v33
	v_add_f32_e32 v31, v48, v32
	v_mul_f32_e32 v33, 0x3eedf032, v45
	s_delay_alu instid0(VALU_DEP_4) | instskip(SKIP_3) | instid1(VALU_DEP_4)
	v_fmamk_f32 v32, v49, 0xbf788fa5, v50
	v_fma_f32 v47, 0xbf788fa5, v49, -v50
	v_add_f32_e32 v48, v27, v12
	v_mul_f32_e32 v12, 0xbf29c268, v45
	v_add_f32_e32 v22, v32, v22
	s_delay_alu instid0(VALU_DEP_4) | instskip(SKIP_2) | instid1(VALU_DEP_3)
	v_dual_fmamk_f32 v32, v49, 0x3f62ad3f, v33 :: v_dual_add_f32 v27, v47, v26
	v_mul_f32_e32 v47, 0x3f52af12, v45
	v_fma_f32 v26, 0x3f62ad3f, v49, -v33
	v_dual_fmamk_f32 v33, v49, 0xbf3f9e67, v12 :: v_dual_add_f32 v24, v32, v24
	v_fma_f32 v12, 0xbf3f9e67, v49, -v12
	s_delay_alu instid0(VALU_DEP_4) | instskip(NEXT) | instid1(VALU_DEP_3)
	v_fmamk_f32 v32, v49, 0x3f116cb1, v47
	v_dual_add_f32 v26, v26, v29 :: v_dual_add_f32 v29, v33, v46
	v_fma_f32 v33, 0x3f116cb1, v49, -v47
	s_delay_alu instid0(VALU_DEP_4) | instskip(SKIP_4) | instid1(VALU_DEP_4)
	v_add_f32_e32 v25, v12, v25
	v_mul_f32_e32 v12, 0xbf6f5d39, v45
	v_add_f32_e32 v30, v32, v30
	v_lshl_add_u32 v32, v51, 2, 0
	v_dual_mul_f32 v45, 0x3f7e222b, v45 :: v_dual_add_f32 v28, v33, v28
	v_fmamk_f32 v33, v49, 0xbeb58ec6, v12
	v_fma_f32 v47, 0xbeb58ec6, v49, -v12
	s_delay_alu instid0(VALU_DEP_4) | instskip(NEXT) | instid1(VALU_DEP_4)
	v_mad_u32_u24 v12, v18, 52, v32
	v_fmamk_f32 v46, v49, 0x3df6dbef, v45
	v_fma_f32 v45, 0x3df6dbef, v49, -v45
	v_add_f32_e32 v33, v33, v34
	v_add_f32_e32 v23, v47, v23
	v_mad_i32_i24 v49, 0xffffffd0, v18, v12
	s_delay_alu instid0(VALU_DEP_4) | instskip(SKIP_1) | instid1(VALU_DEP_3)
	v_dual_add_f32 v31, v46, v31 :: v_dual_add_f32 v34, v45, v48
	v_lshl_add_u32 v50, v18, 2, v32
	v_add_nc_u32_e32 v55, 0x600, v49
	v_add_nc_u32_e32 v45, 0x200, v49
	;; [unrolled: 1-line block ×4, first 2 shown]
	ds_store_2addr_b32 v12, v21, v22 offset1:1
	ds_store_2addr_b32 v12, v24, v29 offset0:2 offset1:3
	ds_store_2addr_b32 v12, v30, v33 offset0:4 offset1:5
	;; [unrolled: 1-line block ×5, first 2 shown]
	ds_store_b32 v12, v27 offset:48
	global_wb scope:SCOPE_SE
	s_wait_dscnt 0x0
	s_wait_kmcnt 0x0
	s_barrier_signal -1
	s_barrier_wait -1
	global_inv scope:SCOPE_SE
	ds_load_2addr_b32 v[33:34], v45 offset0:93 offset1:161
	ds_load_2addr_b32 v[23:24], v46 offset0:101 offset1:186
	;; [unrolled: 1-line block ×5, first 2 shown]
	ds_load_b32 v52, v50
	ds_load_b32 v53, v49 offset:3196
                                        ; implicit-def: $vgpr25
	s_and_saveexec_b32 s1, s0
	s_cbranch_execz .LBB0_14
; %bb.13:
	v_add_nc_u32_e32 v25, 0x300, v49
	v_add_nc_u32_e32 v26, 0xa00, v49
	ds_load_2addr_b32 v[27:28], v25 offset0:12 offset1:233
	ds_load_2addr_b32 v[25:26], v26 offset0:6 offset1:227
.LBB0_14:
	s_wait_alu 0xfffe
	s_or_b32 exec_lo, exec_lo, s1
	v_add_f32_e32 v47, v44, v13
	v_sub_f32_e32 v39, v41, v39
	v_sub_f32_e32 v37, v43, v37
	global_wb scope:SCOPE_SE
	s_wait_dscnt 0x0
	s_barrier_signal -1
	s_barrier_wait -1
	v_dual_mul_f32 v58, 0xbf52af12, v39 :: v_dual_add_f32 v43, v44, v38
	v_add_f32_e32 v44, v42, v40
	v_dual_add_f32 v41, v42, v47 :: v_dual_mul_f32 v56, 0xbf6f5d39, v37
	v_mul_f32_e32 v48, 0xbf7e222b, v37
	v_mul_f32_e32 v42, 0xbeedf032, v37
	s_delay_alu instid0(VALU_DEP_3) | instskip(NEXT) | instid1(VALU_DEP_4)
	v_dual_mul_f32 v60, 0xbe750f2a, v39 :: v_dual_add_f32 v41, v15, v41
	v_fma_f32 v65, 0xbeb58ec6, v43, -v56
	s_delay_alu instid0(VALU_DEP_4) | instskip(NEXT) | instid1(VALU_DEP_4)
	v_fma_f32 v64, 0x3df6dbef, v43, -v48
	v_fma_f32 v62, 0x3f62ad3f, v43, -v42
	s_delay_alu instid0(VALU_DEP_4) | instskip(SKIP_1) | instid1(VALU_DEP_3)
	v_dual_fmac_f32 v42, 0x3f62ad3f, v43 :: v_dual_add_f32 v41, v9, v41
	v_fmac_f32_e32 v48, 0x3df6dbef, v43
	v_dual_mul_f32 v59, 0xbf6f5d39, v39 :: v_dual_add_f32 v62, v62, v13
	s_delay_alu instid0(VALU_DEP_3) | instskip(NEXT) | instid1(VALU_DEP_4)
	v_dual_mul_f32 v61, 0x3f29c268, v39 :: v_dual_add_f32 v42, v42, v13
	v_dual_add_f32 v41, v5, v41 :: v_dual_fmac_f32 v56, 0xbeb58ec6, v43
	v_mul_f32_e32 v47, 0xbf52af12, v37
	s_delay_alu instid0(VALU_DEP_4) | instskip(SKIP_1) | instid1(VALU_DEP_4)
	v_fma_f32 v68, 0xbeb58ec6, v44, -v59
	v_fmac_f32_e32 v59, 0xbeb58ec6, v44
	v_add_f32_e32 v41, v1, v41
	v_add_f32_e32 v56, v56, v13
	v_fma_f32 v63, 0x3f116cb1, v43, -v47
	v_dual_sub_f32 v14, v14, v35 :: v_dual_add_f32 v15, v15, v36
	s_delay_alu instid0(VALU_DEP_4) | instskip(SKIP_1) | instid1(VALU_DEP_4)
	v_add_f32_e32 v41, v3, v41
	v_fmac_f32_e32 v47, 0x3f116cb1, v43
	v_add_f32_e32 v63, v63, v13
	v_add_f32_e32 v1, v1, v3
	global_inv scope:SCOPE_SE
	v_add_f32_e32 v41, v7, v41
	v_add_f32_e32 v64, v64, v13
	;; [unrolled: 1-line block ×3, first 2 shown]
	v_dual_sub_f32 v8, v8, v10 :: v_dual_add_f32 v9, v9, v11
	s_delay_alu instid0(VALU_DEP_4) | instskip(SKIP_1) | instid1(VALU_DEP_3)
	v_dual_add_f32 v41, v11, v41 :: v_dual_sub_f32 v4, v4, v6
	v_add_f32_e32 v5, v5, v7
	v_dual_mul_f32 v11, 0xbf6f5d39, v8 :: v_dual_sub_f32 v0, v0, v2
	s_delay_alu instid0(VALU_DEP_3) | instskip(NEXT) | instid1(VALU_DEP_4)
	v_dual_add_f32 v41, v36, v41 :: v_dual_mul_f32 v36, 0xbf7e222b, v14
	v_mul_f32_e32 v2, 0xbf6f5d39, v4
	s_delay_alu instid0(VALU_DEP_2) | instskip(SKIP_1) | instid1(VALU_DEP_2)
	v_dual_mul_f32 v3, 0xbe750f2a, v0 :: v_dual_add_f32 v40, v40, v41
	v_mul_f32_e32 v57, 0xbf29c268, v37
	v_dual_mul_f32 v37, 0xbe750f2a, v37 :: v_dual_add_f32 v38, v38, v40
	v_add_f32_e32 v40, v68, v63
	s_delay_alu instid0(VALU_DEP_3) | instskip(SKIP_1) | instid1(VALU_DEP_4)
	v_fma_f32 v66, 0xbf3f9e67, v43, -v57
	v_fmac_f32_e32 v57, 0xbf3f9e67, v43
	v_fma_f32 v67, 0xbf788fa5, v43, -v37
	v_fmac_f32_e32 v37, 0xbf788fa5, v43
	v_fma_f32 v43, 0x3f116cb1, v44, -v58
	v_dual_fmac_f32 v58, 0x3f116cb1, v44 :: v_dual_add_f32 v47, v47, v13
	v_add_f32_e32 v66, v66, v13
	v_add_f32_e32 v57, v57, v13
	s_delay_alu instid0(VALU_DEP_3)
	v_dual_add_f32 v41, v67, v13 :: v_dual_add_f32 v42, v58, v42
	v_add_f32_e32 v65, v65, v13
	v_add_f32_e32 v13, v37, v13
	;; [unrolled: 1-line block ×3, first 2 shown]
	v_fma_f32 v43, 0xbf788fa5, v44, -v60
	v_dual_fmac_f32 v60, 0xbf788fa5, v44 :: v_dual_add_f32 v47, v59, v47
	v_fma_f32 v58, 0xbf3f9e67, v44, -v61
	v_fmac_f32_e32 v61, 0xbf3f9e67, v44
	s_delay_alu instid0(VALU_DEP_4) | instskip(NEXT) | instid1(VALU_DEP_4)
	v_add_f32_e32 v43, v43, v64
	v_dual_add_f32 v48, v60, v48 :: v_dual_mul_f32 v59, 0x3f7e222b, v39
	s_delay_alu instid0(VALU_DEP_1) | instskip(NEXT) | instid1(VALU_DEP_1)
	v_fma_f32 v35, 0x3df6dbef, v44, -v59
	v_add_f32_e32 v35, v35, v66
	v_fmac_f32_e32 v59, 0x3df6dbef, v44
	v_mul_f32_e32 v39, 0x3eedf032, v39
	s_delay_alu instid0(VALU_DEP_1) | instskip(NEXT) | instid1(VALU_DEP_3)
	v_fma_f32 v60, 0x3f62ad3f, v44, -v39
	v_dual_fmac_f32 v39, 0x3f62ad3f, v44 :: v_dual_add_f32 v44, v59, v57
	v_fma_f32 v57, 0x3df6dbef, v15, -v36
	v_mul_f32_e32 v59, 0xbe750f2a, v14
	s_delay_alu instid0(VALU_DEP_3) | instskip(NEXT) | instid1(VALU_DEP_3)
	v_dual_fmac_f32 v36, 0x3df6dbef, v15 :: v_dual_add_f32 v13, v39, v13
	v_add_f32_e32 v37, v57, v37
	s_delay_alu instid0(VALU_DEP_3) | instskip(SKIP_1) | instid1(VALU_DEP_4)
	v_fma_f32 v39, 0xbf788fa5, v15, -v59
	v_mul_f32_e32 v57, 0x3f6f5d39, v14
	v_add_f32_e32 v36, v36, v42
	v_mul_f32_e32 v42, 0x3eedf032, v14
	s_delay_alu instid0(VALU_DEP_4) | instskip(NEXT) | instid1(VALU_DEP_4)
	v_dual_add_f32 v58, v58, v65 :: v_dual_add_f32 v39, v39, v40
	v_fma_f32 v40, 0xbeb58ec6, v15, -v57
	v_add_f32_e32 v56, v61, v56
	s_delay_alu instid0(VALU_DEP_2) | instskip(SKIP_3) | instid1(VALU_DEP_4)
	v_dual_add_f32 v40, v40, v43 :: v_dual_mul_f32 v43, 0xbf52af12, v14
	v_mul_f32_e32 v14, 0xbf29c268, v14
	v_fmac_f32_e32 v59, 0xbf788fa5, v15
	v_fmac_f32_e32 v57, 0xbeb58ec6, v15
	v_fma_f32 v10, 0x3f116cb1, v15, -v43
	s_delay_alu instid0(VALU_DEP_3) | instskip(SKIP_2) | instid1(VALU_DEP_2)
	v_add_f32_e32 v47, v59, v47
	v_fma_f32 v59, 0x3f62ad3f, v15, -v42
	v_dual_fmac_f32 v42, 0x3f62ad3f, v15 :: v_dual_add_f32 v41, v60, v41
	v_dual_add_f32 v48, v57, v48 :: v_dual_add_f32 v57, v59, v58
	s_delay_alu instid0(VALU_DEP_2) | instskip(SKIP_3) | instid1(VALU_DEP_2)
	v_add_f32_e32 v42, v42, v56
	v_add_f32_e32 v10, v10, v35
	v_fmac_f32_e32 v43, 0x3f116cb1, v15
	v_fma_f32 v35, 0xbf3f9e67, v15, -v14
	v_dual_fmac_f32 v14, 0xbf3f9e67, v15 :: v_dual_add_f32 v15, v43, v44
	v_fma_f32 v43, 0xbeb58ec6, v9, -v11
	v_mul_f32_e32 v44, 0x3f29c268, v8
	v_fmac_f32_e32 v11, 0xbeb58ec6, v9
	v_add_f32_e32 v35, v35, v41
	v_add_f32_e32 v13, v14, v13
	v_mul_f32_e32 v41, 0x3eedf032, v8
	s_delay_alu instid0(VALU_DEP_4) | instskip(SKIP_3) | instid1(VALU_DEP_1)
	v_add_f32_e32 v11, v11, v36
	v_mul_f32_e32 v36, 0xbf7e222b, v8
	v_add_f32_e32 v14, v43, v37
	v_fma_f32 v37, 0xbf3f9e67, v9, -v44
	v_dual_fmac_f32 v44, 0xbf3f9e67, v9 :: v_dual_add_f32 v37, v37, v39
	v_fma_f32 v39, 0x3f62ad3f, v9, -v41
	s_delay_alu instid0(VALU_DEP_2) | instskip(NEXT) | instid1(VALU_DEP_2)
	v_add_f32_e32 v43, v44, v47
	v_add_f32_e32 v39, v39, v40
	v_mul_f32_e32 v40, 0x3e750f2a, v8
	v_mul_f32_e32 v8, 0x3f52af12, v8
	v_fma_f32 v44, 0x3df6dbef, v9, -v36
	v_fmac_f32_e32 v36, 0x3df6dbef, v9
	s_delay_alu instid0(VALU_DEP_4) | instskip(SKIP_1) | instid1(VALU_DEP_4)
	v_fma_f32 v6, 0xbf788fa5, v9, -v40
	v_fmac_f32_e32 v40, 0xbf788fa5, v9
	v_add_f32_e32 v44, v44, v57
	s_delay_alu instid0(VALU_DEP_4) | instskip(NEXT) | instid1(VALU_DEP_4)
	v_add_f32_e32 v36, v36, v42
	v_add_f32_e32 v6, v6, v10
	v_fma_f32 v10, 0x3f116cb1, v9, -v8
	v_dual_add_f32 v15, v40, v15 :: v_dual_mul_f32 v40, 0x3f7e222b, v4
	v_fmac_f32_e32 v41, 0x3f62ad3f, v9
	v_fmac_f32_e32 v8, 0x3f116cb1, v9
	s_delay_alu instid0(VALU_DEP_4) | instskip(NEXT) | instid1(VALU_DEP_1)
	v_dual_add_f32 v10, v10, v35 :: v_dual_mul_f32 v7, 0xbf29c268, v4
	v_fma_f32 v9, 0xbf3f9e67, v5, -v7
	v_fmac_f32_e32 v7, 0xbf3f9e67, v5
	s_delay_alu instid0(VALU_DEP_2) | instskip(SKIP_2) | instid1(VALU_DEP_4)
	v_dual_add_f32 v9, v9, v14 :: v_dual_mul_f32 v14, 0xbf52af12, v4
	v_add_f32_e32 v8, v8, v13
	v_fma_f32 v13, 0x3df6dbef, v5, -v40
	v_dual_add_f32 v7, v7, v11 :: v_dual_fmac_f32 v40, 0x3df6dbef, v5
	v_mul_f32_e32 v11, 0x3e750f2a, v4
	v_fma_f32 v35, 0x3f116cb1, v5, -v14
	s_delay_alu instid0(VALU_DEP_4) | instskip(NEXT) | instid1(VALU_DEP_4)
	v_add_f32_e32 v13, v13, v37
	v_dual_fmac_f32 v14, 0x3f116cb1, v5 :: v_dual_add_f32 v37, v40, v43
	s_delay_alu instid0(VALU_DEP_4) | instskip(NEXT) | instid1(VALU_DEP_1)
	v_fma_f32 v40, 0xbf788fa5, v5, -v11
                                        ; implicit-def: $vgpr43
	v_dual_add_f32 v40, v40, v44 :: v_dual_fmac_f32 v11, 0xbf788fa5, v5
	s_delay_alu instid0(VALU_DEP_1) | instskip(SKIP_2) | instid1(VALU_DEP_2)
	v_add_f32_e32 v11, v11, v36
	v_fma_f32 v36, 0xbeb58ec6, v5, -v2
	v_fmac_f32_e32 v2, 0xbeb58ec6, v5
	v_add_f32_e32 v10, v36, v10
	v_dual_mul_f32 v36, 0xbf6f5d39, v0 :: v_dual_add_f32 v39, v35, v39
	v_mul_f32_e32 v35, 0x3eedf032, v4
	s_delay_alu instid0(VALU_DEP_4) | instskip(SKIP_1) | instid1(VALU_DEP_3)
	v_add_f32_e32 v2, v2, v8
	v_mul_f32_e32 v8, 0xbf29c268, v0
	v_fma_f32 v4, 0x3f62ad3f, v5, -v35
	v_fmac_f32_e32 v35, 0x3f62ad3f, v5
	v_fma_f32 v5, 0xbf788fa5, v1, -v3
	s_delay_alu instid0(VALU_DEP_3) | instskip(NEXT) | instid1(VALU_DEP_3)
	v_dual_fmac_f32 v3, 0xbf788fa5, v1 :: v_dual_add_f32 v4, v4, v6
	v_dual_add_f32 v41, v41, v48 :: v_dual_add_f32 v6, v35, v15
	v_mul_f32_e32 v15, 0x3eedf032, v0
	s_delay_alu instid0(VALU_DEP_4) | instskip(NEXT) | instid1(VALU_DEP_4)
	v_add_f32_e32 v5, v5, v9
	v_add_f32_e32 v35, v3, v7
	s_delay_alu instid0(VALU_DEP_4) | instskip(NEXT) | instid1(VALU_DEP_4)
	v_dual_mul_f32 v3, 0x3f52af12, v0 :: v_dual_add_f32 v14, v14, v41
	v_fma_f32 v9, 0x3f62ad3f, v1, -v15
	v_fmac_f32_e32 v15, 0x3f62ad3f, v1
	v_fma_f32 v7, 0xbf3f9e67, v1, -v8
	v_fmac_f32_e32 v8, 0xbf3f9e67, v1
	s_delay_alu instid0(VALU_DEP_4) | instskip(NEXT) | instid1(VALU_DEP_4)
	v_dual_mul_f32 v0, 0x3f7e222b, v0 :: v_dual_add_f32 v9, v9, v13
	v_add_f32_e32 v13, v15, v37
	v_fma_f32 v15, 0x3f116cb1, v1, -v3
	s_delay_alu instid0(VALU_DEP_4) | instskip(NEXT) | instid1(VALU_DEP_4)
	v_dual_add_f32 v8, v8, v14 :: v_dual_fmac_f32 v3, 0x3f116cb1, v1
	v_fma_f32 v37, 0x3df6dbef, v1, -v0
	v_fmac_f32_e32 v0, 0x3df6dbef, v1
	s_delay_alu instid0(VALU_DEP_4) | instskip(SKIP_2) | instid1(VALU_DEP_4)
	v_add_f32_e32 v14, v15, v40
	v_fma_f32 v15, 0xbeb58ec6, v1, -v36
	v_dual_fmac_f32 v36, 0xbeb58ec6, v1 :: v_dual_add_f32 v7, v7, v39
	v_dual_add_f32 v1, v3, v11 :: v_dual_add_f32 v0, v0, v2
	s_delay_alu instid0(VALU_DEP_2)
	v_dual_add_f32 v3, v15, v4 :: v_dual_add_f32 v4, v36, v6
	v_add_f32_e32 v6, v37, v10
	ds_store_2addr_b32 v12, v38, v5 offset1:1
	ds_store_2addr_b32 v12, v9, v7 offset0:2 offset1:3
	ds_store_2addr_b32 v12, v14, v3 offset0:4 offset1:5
	;; [unrolled: 1-line block ×5, first 2 shown]
	ds_store_b32 v12, v35 offset:48
	global_wb scope:SCOPE_SE
	s_wait_dscnt 0x0
	s_barrier_signal -1
	s_barrier_wait -1
	global_inv scope:SCOPE_SE
	ds_load_2addr_b32 v[47:48], v45 offset0:93 offset1:161
	ds_load_2addr_b32 v[45:46], v46 offset0:101 offset1:186
	;; [unrolled: 1-line block ×5, first 2 shown]
	ds_load_b32 v54, v50
	ds_load_b32 v60, v49 offset:3196
	s_and_saveexec_b32 s1, s0
	s_cbranch_execz .LBB0_16
; %bb.15:
	v_add_nc_u32_e32 v0, 0x300, v49
	v_add_nc_u32_e32 v1, 0xa00, v49
	ds_load_2addr_b32 v[35:36], v0 offset0:12 offset1:233
	ds_load_2addr_b32 v[43:44], v1 offset0:6 offset1:227
.LBB0_16:
	s_wait_alu 0xfffe
	s_or_b32 exec_lo, exec_lo, s1
	v_and_b32_e32 v0, 0xff, v18
	v_add_nc_u16 v1, v18, 0x44
	v_add_nc_u16 v2, v18, 0x88
	v_lshlrev_b32_e32 v51, 2, v51
	s_delay_alu instid0(VALU_DEP_4) | instskip(NEXT) | instid1(VALU_DEP_4)
	v_mul_lo_u16 v0, 0x4f, v0
	v_and_b32_e32 v3, 0xff, v1
	s_delay_alu instid0(VALU_DEP_2) | instskip(SKIP_1) | instid1(VALU_DEP_3)
	v_lshrrev_b16 v55, 10, v0
	v_and_b32_e32 v0, 0xff, v2
	v_mul_lo_u16 v3, 0x4f, v3
	s_delay_alu instid0(VALU_DEP_3) | instskip(NEXT) | instid1(VALU_DEP_3)
	v_mul_lo_u16 v4, v55, 13
	v_mul_lo_u16 v0, 0x4f, v0
	s_delay_alu instid0(VALU_DEP_3) | instskip(SKIP_1) | instid1(VALU_DEP_4)
	v_lshrrev_b16 v57, 10, v3
	v_and_b32_e32 v55, 0xffff, v55
	v_sub_nc_u16 v3, v18, v4
	s_delay_alu instid0(VALU_DEP_4) | instskip(NEXT) | instid1(VALU_DEP_4)
	v_lshrrev_b16 v58, 10, v0
	v_mul_lo_u16 v0, v57, 13
	v_and_b32_e32 v57, 0xffff, v57
	v_mad_u32_u24 v55, 0xd0, v55, 0
	v_and_b32_e32 v59, 0xff, v3
	s_delay_alu instid0(VALU_DEP_4) | instskip(NEXT) | instid1(VALU_DEP_4)
	v_sub_nc_u16 v0, v1, v0
	v_mad_u32_u24 v57, 0xd0, v57, 0
	s_delay_alu instid0(VALU_DEP_3) | instskip(SKIP_1) | instid1(VALU_DEP_4)
	v_mul_u32_u24_e32 v1, 3, v59
	v_lshlrev_b32_e32 v59, 2, v59
	v_and_b32_e32 v69, 0xff, v0
	s_delay_alu instid0(VALU_DEP_3) | instskip(SKIP_4) | instid1(VALU_DEP_1)
	v_lshlrev_b32_e32 v0, 3, v1
	s_clause 0x1
	global_load_b128 v[8:11], v0, s[8:9]
	global_load_b64 v[61:62], v0, s[8:9] offset:16
	v_add_nc_u32_e32 v56, 0xcc, v18
	v_and_b32_e32 v5, 0xffff, v56
	s_delay_alu instid0(VALU_DEP_1) | instskip(NEXT) | instid1(VALU_DEP_1)
	v_mul_u32_u24_e32 v4, 0x4ec5, v5
	v_lshrrev_b32_e32 v3, 18, v4
	v_mul_lo_u16 v4, v58, 13
	v_and_b32_e32 v58, 0xffff, v58
	s_delay_alu instid0(VALU_DEP_3) | instskip(NEXT) | instid1(VALU_DEP_3)
	v_mul_lo_u16 v3, v3, 13
	v_sub_nc_u16 v2, v2, v4
	s_delay_alu instid0(VALU_DEP_3) | instskip(SKIP_1) | instid1(VALU_DEP_3)
	v_mad_u32_u24 v72, 0xd0, v58, 0
	v_add3_u32 v58, v55, v59, v51
	v_and_b32_e32 v70, 0xff, v2
	v_mul_u32_u24_e32 v2, 3, v69
	v_lshlrev_b32_e32 v69, 2, v69
	s_delay_alu instid0(VALU_DEP_1) | instskip(SKIP_4) | instid1(VALU_DEP_3)
	v_add3_u32 v59, v57, v69, v51
	s_wait_loadcnt_dscnt 0x106
	v_mul_f32_e32 v69, v47, v9
	v_mul_f32_e32 v9, v33, v9
	v_sub_nc_u16 v1, v56, v3
	v_fmac_f32_e32 v69, v33, v8
	s_delay_alu instid0(VALU_DEP_3) | instskip(NEXT) | instid1(VALU_DEP_3)
	v_fma_f32 v47, v47, v8, -v9
	v_and_b32_e32 v71, 0xffff, v1
	v_lshlrev_b32_e32 v1, 3, v2
	s_clause 0x1
	global_load_b128 v[12:15], v1, s[8:9]
	global_load_b64 v[63:64], v1, s[8:9] offset:16
	v_mul_u32_u24_e32 v2, 3, v71
	v_lshlrev_b32_e32 v55, 2, v71
	s_wait_loadcnt_dscnt 0x204
	v_mul_f32_e32 v71, v41, v62
	v_mul_f32_e32 v62, v31, v62
	v_lshlrev_b32_e32 v67, 3, v2
	s_delay_alu instid0(VALU_DEP_3) | instskip(SKIP_4) | instid1(VALU_DEP_3)
	v_fmac_f32_e32 v71, v31, v61
	v_mul_u32_u24_e32 v0, 3, v70
	v_lshlrev_b32_e32 v70, 2, v70
	v_fma_f32 v8, v41, v61, -v62
	s_wait_loadcnt 0x1
	v_dual_mul_f32 v31, v48, v13 :: v_dual_lshlrev_b32 v4, 3, v0
	s_clause 0x3
	global_load_b128 v[0:3], v4, s[8:9]
	global_load_b64 v[65:66], v4, s[8:9] offset:16
	global_load_b128 v[4:7], v67, s[8:9]
	global_load_b64 v[67:68], v67, s[8:9] offset:16
	v_mul_f32_e32 v9, v34, v13
	s_wait_dscnt 0x2
	v_mul_f32_e32 v13, v39, v15
	s_wait_loadcnt 0x4
	v_mul_f32_e32 v33, v42, v64
	v_and_b32_e32 v56, 0xff, v56
	v_fmac_f32_e32 v31, v34, v12
	v_fma_f32 v48, v48, v12, -v9
	global_wb scope:SCOPE_SE
	s_wait_loadcnt_dscnt 0x0
	s_barrier_signal -1
	s_barrier_wait -1
	global_inv scope:SCOPE_SE
	v_mul_f32_e32 v62, v45, v1
	v_mul_f32_e32 v1, v23, v1
	v_dual_mul_f32 v61, v53, v66 :: v_dual_mul_f32 v74, v44, v68
	v_mul_f32_e32 v41, v32, v64
	v_mul_f32_e32 v64, v40, v3
	v_fmac_f32_e32 v62, v23, v0
	v_add3_u32 v57, v72, v70, v51
	v_fmac_f32_e32 v74, v26, v67
	v_mul_f32_e32 v70, v46, v11
	v_mul_f32_e32 v72, v60, v66
	;; [unrolled: 1-line block ×4, first 2 shown]
	v_fma_f32 v9, v42, v63, -v41
	v_fmac_f32_e32 v70, v24, v10
	v_dual_fmac_f32 v64, v22, v2 :: v_dual_mul_f32 v5, v28, v5
	v_fma_f32 v45, v45, v0, -v1
	v_fma_f32 v12, v60, v65, -v61
	v_fmac_f32_e32 v66, v28, v4
	v_sub_f32_e32 v0, v69, v71
	v_dual_fmac_f32 v33, v32, v63 :: v_dual_sub_f32 v60, v47, v8
	v_fma_f32 v8, v44, v67, -v68
	v_dual_sub_f32 v61, v48, v9 :: v_dual_sub_f32 v32, v30, v64
	v_fma_f32 v34, v36, v4, -v5
	v_sub_f32_e32 v36, v66, v74
	v_fmac_f32_e32 v13, v21, v14
	v_dual_sub_f32 v5, v52, v70 :: v_dual_fmac_f32 v72, v53, v65
	v_sub_f32_e32 v53, v45, v12
	v_fma_f32 v28, v69, 2.0, -v0
	s_delay_alu instid0(VALU_DEP_3) | instskip(SKIP_2) | instid1(VALU_DEP_2)
	v_fma_f32 v26, v52, 2.0, -v5
	v_dual_sub_f32 v52, v34, v8 :: v_dual_sub_f32 v13, v29, v13
	v_sub_f32_e32 v23, v62, v72
	v_dual_sub_f32 v9, v26, v28 :: v_dual_add_f32 v12, v13, v61
	v_dual_mul_f32 v73, v43, v7 :: v_dual_add_f32 v4, v5, v60
	s_delay_alu instid0(VALU_DEP_2) | instskip(NEXT) | instid1(VALU_DEP_3)
	v_fma_f32 v44, v26, 2.0, -v9
	v_fma_f32 v26, v13, 2.0, -v12
	s_delay_alu instid0(VALU_DEP_3) | instskip(NEXT) | instid1(VALU_DEP_4)
	v_fmac_f32_e32 v73, v25, v6
	v_fma_f32 v8, v5, 2.0, -v4
	v_fma_f32 v5, v29, 2.0, -v13
	;; [unrolled: 1-line block ×3, first 2 shown]
	ds_store_2addr_b32 v58, v9, v4 offset0:26 offset1:39
	v_sub_f32_e32 v42, v27, v73
	v_sub_f32_e32 v1, v31, v33
	v_fma_f32 v33, v66, 2.0, -v36
	s_delay_alu instid0(VALU_DEP_3) | instskip(NEXT) | instid1(VALU_DEP_3)
	v_fma_f32 v62, v27, 2.0, -v42
	v_fma_f32 v28, v31, 2.0, -v1
	;; [unrolled: 1-line block ×3, first 2 shown]
	v_dual_add_f32 v30, v32, v53 :: v_dual_add_f32 v41, v42, v52
	s_delay_alu instid0(VALU_DEP_4) | instskip(NEXT) | instid1(VALU_DEP_4)
	v_sub_f32_e32 v33, v62, v33
	v_sub_f32_e32 v27, v5, v28
	s_delay_alu instid0(VALU_DEP_4) | instskip(NEXT) | instid1(VALU_DEP_4)
	v_sub_f32_e32 v29, v31, v29
	v_fma_f32 v28, v32, 2.0, -v30
	v_fma_f32 v32, v42, 2.0, -v41
	s_delay_alu instid0(VALU_DEP_4) | instskip(NEXT) | instid1(VALU_DEP_4)
	v_fma_f32 v5, v5, 2.0, -v27
	v_fma_f32 v13, v31, 2.0, -v29
	;; [unrolled: 1-line block ×3, first 2 shown]
	ds_store_2addr_b32 v58, v44, v8 offset1:13
	ds_store_2addr_b32 v59, v27, v12 offset0:26 offset1:39
	ds_store_2addr_b32 v59, v5, v26 offset1:13
	ds_store_2addr_b32 v57, v13, v28 offset1:13
	ds_store_2addr_b32 v57, v29, v30 offset0:26 offset1:39
	s_and_saveexec_b32 s1, s0
	s_cbranch_execz .LBB0_18
; %bb.17:
	v_mul_lo_u16 v42, 0x4f, v56
	s_delay_alu instid0(VALU_DEP_1) | instskip(NEXT) | instid1(VALU_DEP_1)
	v_lshrrev_b16 v42, 10, v42
	v_and_b32_e32 v42, 0xffff, v42
	s_delay_alu instid0(VALU_DEP_1) | instskip(NEXT) | instid1(VALU_DEP_1)
	v_mad_u32_u24 v42, 0xd0, v42, 0
	v_add3_u32 v42, v42, v55, v51
	ds_store_2addr_b32 v42, v31, v32 offset1:13
	ds_store_2addr_b32 v42, v33, v41 offset0:26 offset1:39
.LBB0_18:
	s_wait_alu 0xfffe
	s_or_b32 exec_lo, exec_lo, s1
	v_cmp_gt_u32_e64 s1, 52, v18
	global_wb scope:SCOPE_SE
	s_wait_dscnt 0x0
	s_barrier_signal -1
	s_barrier_wait -1
	global_inv scope:SCOPE_SE
	s_and_saveexec_b32 s4, s1
	s_cbranch_execz .LBB0_20
; %bb.19:
	v_add_nc_u32_e32 v12, 0x400, v49
	v_add_nc_u32_e32 v28, 0x600, v49
	;; [unrolled: 1-line block ×4, first 2 shown]
	ds_load_b32 v44, v50
	ds_load_2addr_b32 v[8:9], v49 offset0:52 offset1:104
	ds_load_2addr_b32 v[4:5], v49 offset0:156 offset1:208
	;; [unrolled: 1-line block ×8, first 2 shown]
.LBB0_20:
	s_wait_alu 0xfffe
	s_or_b32 exec_lo, exec_lo, s4
	v_mul_f32_e32 v11, v24, v11
	v_mul_f32_e32 v3, v22, v3
	v_fma_f32 v22, v45, 2.0, -v53
	global_wb scope:SCOPE_SE
	s_wait_dscnt 0x0
	s_barrier_signal -1
	v_fma_f32 v10, v46, v10, -v11
	v_fma_f32 v2, v40, v2, -v3
	v_mul_f32_e32 v15, v21, v15
	v_fma_f32 v21, v48, 2.0, -v61
	s_barrier_wait -1
	v_sub_f32_e32 v10, v54, v10
	v_dual_sub_f32 v2, v38, v2 :: v_dual_mul_f32 v7, v25, v7
	v_fma_f32 v11, v39, v14, -v15
	v_fma_f32 v14, v47, 2.0, -v60
	v_fma_f32 v39, v34, 2.0, -v52
	global_inv scope:SCOPE_SE
	v_fma_f32 v3, v43, v6, -v7
	v_sub_f32_e32 v6, v10, v0
	v_fma_f32 v7, v54, 2.0, -v10
	v_fma_f32 v0, v38, 2.0, -v2
	v_sub_f32_e32 v34, v2, v23
	v_sub_f32_e32 v3, v35, v3
	;; [unrolled: 1-line block ×4, first 2 shown]
	v_fma_f32 v14, v10, 2.0, -v6
	v_fma_f32 v23, v2, 2.0, -v34
	v_sub_f32_e32 v38, v3, v36
	v_fma_f32 v24, v37, 2.0, -v25
	v_fma_f32 v35, v35, 2.0, -v3
	;; [unrolled: 1-line block ×3, first 2 shown]
	s_delay_alu instid0(VALU_DEP_4) | instskip(NEXT) | instid1(VALU_DEP_4)
	v_fma_f32 v36, v3, 2.0, -v38
	v_sub_f32_e32 v11, v24, v21
	v_sub_f32_e32 v21, v25, v1
	;; [unrolled: 1-line block ×3, first 2 shown]
	s_delay_alu instid0(VALU_DEP_3) | instskip(SKIP_1) | instid1(VALU_DEP_4)
	v_fma_f32 v7, v24, 2.0, -v11
	v_sub_f32_e32 v24, v0, v22
	v_fma_f32 v10, v25, 2.0, -v21
	s_delay_alu instid0(VALU_DEP_4) | instskip(NEXT) | instid1(VALU_DEP_3)
	v_fma_f32 v35, v35, 2.0, -v37
	v_fma_f32 v22, v0, 2.0, -v24
	ds_store_2addr_b32 v58, v40, v14 offset1:13
	ds_store_2addr_b32 v58, v15, v6 offset0:26 offset1:39
	ds_store_2addr_b32 v59, v7, v10 offset1:13
	ds_store_2addr_b32 v59, v11, v21 offset0:26 offset1:39
	;; [unrolled: 2-line block ×3, first 2 shown]
	s_and_saveexec_b32 s4, s0
	s_cbranch_execz .LBB0_22
; %bb.21:
	v_mul_lo_u16 v0, 0x4f, v56
	s_delay_alu instid0(VALU_DEP_1) | instskip(NEXT) | instid1(VALU_DEP_1)
	v_lshrrev_b16 v0, 10, v0
	v_and_b32_e32 v0, 0xffff, v0
	s_delay_alu instid0(VALU_DEP_1) | instskip(NEXT) | instid1(VALU_DEP_1)
	v_mad_u32_u24 v0, 0xd0, v0, 0
	v_add3_u32 v0, v0, v55, v51
	ds_store_2addr_b32 v0, v35, v36 offset1:13
	ds_store_2addr_b32 v0, v37, v38 offset0:26 offset1:39
.LBB0_22:
	s_wait_alu 0xfffe
	s_or_b32 exec_lo, exec_lo, s4
	global_wb scope:SCOPE_SE
	s_wait_dscnt 0x0
	s_barrier_signal -1
	s_barrier_wait -1
	global_inv scope:SCOPE_SE
	s_and_saveexec_b32 s0, s1
	s_cbranch_execz .LBB0_24
; %bb.23:
	v_add_nc_u32_e32 v0, 0x400, v49
	v_add_nc_u32_e32 v1, 0x600, v49
	;; [unrolled: 1-line block ×4, first 2 shown]
	ds_load_b32 v40, v50
	ds_load_2addr_b32 v[14:15], v49 offset0:52 offset1:104
	ds_load_2addr_b32 v[6:7], v49 offset0:156 offset1:208
	;; [unrolled: 1-line block ×8, first 2 shown]
.LBB0_24:
	s_wait_alu 0xfffe
	s_or_b32 exec_lo, exec_lo, s0
	v_cmp_gt_u32_e64 s0, 52, v18
	s_delay_alu instid0(VALU_DEP_1)
	s_and_b32 s0, vcc_lo, s0
	s_wait_alu 0xfffe
	s_and_saveexec_b32 s4, s0
	s_cbranch_execz .LBB0_26
; %bb.25:
	v_dual_mov_b32 v1, 0 :: v_dual_lshlrev_b32 v0, 4, v18
	v_mul_lo_u32 v20, s2, v20
	s_delay_alu instid0(VALU_DEP_2) | instskip(NEXT) | instid1(VALU_DEP_1)
	v_add_nc_u32_e32 v2, 0xfffffcc0, v0
	v_cndmask_b32_e64 v0, v2, v0, s1
	s_delay_alu instid0(VALU_DEP_1) | instskip(SKIP_1) | instid1(VALU_DEP_2)
	v_lshlrev_b64_e32 v[2:3], 3, v[0:1]
	v_mul_lo_u32 v0, s3, v19
	v_add_co_u32 v2, vcc_lo, s8, v2
	s_wait_alu 0xfffd
	s_delay_alu instid0(VALU_DEP_3)
	v_add_co_ci_u32_e32 v3, vcc_lo, s9, v3, vcc_lo
	s_clause 0x7
	global_load_b128 v[54:57], v[2:3], off offset:312
	global_load_b128 v[63:66], v[2:3], off offset:424
	;; [unrolled: 1-line block ×8, first 2 shown]
	v_mad_co_u64_u32 v[2:3], null, s2, v19, 0
	s_delay_alu instid0(VALU_DEP_1) | instskip(NEXT) | instid1(VALU_DEP_1)
	v_add3_u32 v3, v3, v20, v0
	v_lshlrev_b64_e32 v[2:3], 3, v[2:3]
	s_wait_loadcnt_dscnt 0x600
	v_dual_mul_f32 v47, v14, v55 :: v_dual_mul_f32 v0, v39, v66
	v_dual_mul_f32 v25, v8, v55 :: v_dual_mul_f32 v20, v42, v66
	s_wait_loadcnt 0x4
	v_mul_f32_e32 v43, v37, v77
	v_dual_mul_f32 v52, v41, v64 :: v_dual_mul_f32 v53, v7, v70
	v_dual_mul_f32 v60, v9, v57 :: v_dual_mul_f32 v51, v6, v68
	;; [unrolled: 1-line block ×4, first 2 shown]
	s_wait_loadcnt 0x3
	v_dual_mul_f32 v66, v4, v68 :: v_dual_mul_f32 v55, v10, v79
	s_wait_loadcnt 0x2
	v_dual_mul_f32 v68, v32, v75 :: v_dual_mul_f32 v73, v31, v85
	v_dual_mul_f32 v70, v5, v70 :: v_dual_mul_f32 v77, v26, v79
	;; [unrolled: 1-line block ×3, first 2 shown]
	s_wait_loadcnt 0x1
	v_dual_mul_f32 v58, v11, v81 :: v_dual_mul_f32 v59, v21, v87
	v_dual_mul_f32 v50, v34, v83 :: v_dual_mul_f32 v81, v27, v81
	s_wait_loadcnt 0x0
	v_dual_mul_f32 v83, v29, v93 :: v_dual_fmac_f32 v46, v31, v84
	v_dual_mul_f32 v85, v12, v87 :: v_dual_mul_f32 v62, v22, v89
	v_dual_mul_f32 v61, v23, v91 :: v_dual_fmac_f32 v0, v42, v65
	v_dual_mul_f32 v89, v13, v89 :: v_dual_fmac_f32 v50, v30, v82
	v_fma_f32 v49, v39, v65, -v20
	v_fma_f32 v52, v38, v63, -v52
	;; [unrolled: 1-line block ×4, first 2 shown]
	v_dual_mul_f32 v57, v24, v93 :: v_dual_fmac_f32 v48, v9, v56
	v_fmac_f32_e32 v19, v41, v63
	v_dual_fmac_f32 v47, v8, v54 :: v_dual_fmac_f32 v62, v13, v88
	v_fma_f32 v54, v37, v76, -v64
	v_fma_f32 v71, v6, v67, -v66
	;; [unrolled: 1-line block ×4, first 2 shown]
	v_fmac_f32_e32 v53, v5, v69
	v_fma_f32 v60, v35, v84, -v73
	v_fma_f32 v64, v24, v92, -v83
	v_fmac_f32_e32 v45, v32, v74
	v_fmac_f32_e32 v51, v4, v67
	v_fma_f32 v67, v21, v86, -v85
	v_dual_fmac_f32 v61, v28, v90 :: v_dual_sub_f32 v84, v75, v49
	v_fma_f32 v66, v22, v88, -v89
	v_add_f32_e32 v88, v72, v52
	v_dual_fmac_f32 v43, v33, v76 :: v_dual_sub_f32 v32, v48, v19
	v_dual_mul_f32 v87, v28, v91 :: v_dual_fmac_f32 v58, v27, v80
	v_fma_f32 v69, v10, v78, -v77
	v_fmac_f32_e32 v59, v12, v86
	v_dual_sub_f32 v41, v47, v0 :: v_dual_add_f32 v38, v48, v19
	v_add_f32_e32 v86, v70, v56
	v_add_f32_e32 v74, v67, v64
	v_dual_sub_f32 v30, v53, v45 :: v_dual_sub_f32 v31, v51, v43
	v_dual_add_f32 v36, v53, v45 :: v_dual_add_f32 v39, v47, v0
	v_dual_add_f32 v42, v62, v61 :: v_dual_sub_f32 v83, v72, v52
	s_delay_alu instid0(VALU_DEP_3)
	v_dual_mul_f32 v98, 0x3f763a35, v30 :: v_dual_sub_f32 v77, v67, v64
	v_dual_mul_f32 v114, 0xbf7ee86f, v41 :: v_dual_mul_f32 v25, 0xbf7ee86f, v84
	v_mul_f32_e32 v8, 0xbf7ee86f, v31
	v_fma_f32 v63, v34, v82, -v79
	v_fma_f32 v68, v11, v80, -v81
	v_fmac_f32_e32 v55, v26, v78
	v_dual_fmac_f32 v57, v29, v92 :: v_dual_sub_f32 v28, v58, v50
	v_fma_f32 v65, v23, v90, -v87
	v_dual_add_f32 v89, v75, v49 :: v_dual_sub_f32 v80, v70, v56
	v_dual_sub_f32 v79, v69, v60 :: v_dual_mul_f32 v92, 0xbf7ee86f, v77
	v_mul_f32_e32 v105, 0xbf65296c, v41
	v_dual_mul_f32 v24, 0xbe3c28d5, v83 :: v_dual_mul_f32 v13, 0xbe3c28d5, v28
	v_fma_f32 v156, 0x3dbcf732, v39, -v25
	v_dual_add_f32 v76, v68, v63 :: v_dual_sub_f32 v29, v55, v46
	v_sub_f32_e32 v82, v66, v65
	v_sub_f32_e32 v26, v62, v61
	v_dual_sub_f32 v27, v59, v57 :: v_dual_mul_f32 v102, 0xbf4c4adb, v32
	v_dual_sub_f32 v81, v71, v54 :: v_dual_mul_f32 v94, 0xbeb8f4ab, v28
	v_dual_mul_f32 v22, 0xbe3c28d5, v32 :: v_dual_mul_f32 v125, 0xbe3c28d5, v29
	v_mul_f32_e32 v110, 0xbf65296c, v79
	v_dual_mul_f32 v130, 0xbf763a35, v41 :: v_dual_mul_f32 v133, 0xbf763a35, v84
	v_dual_mul_f32 v129, 0x3f06c442, v83 :: v_dual_add_f32 v156, v44, v156
	v_dual_mul_f32 v7, 0x3f65296c, v83 :: v_dual_mul_f32 v146, 0x3f65296c, v28
	v_fmamk_f32 v150, v89, 0x3ee437d1, v105
	v_fmamk_f32 v154, v89, 0x3dbcf732, v114
	v_fma_f32 v157, 0xbf7ba420, v38, -v24
	v_dual_add_f32 v35, v55, v46 :: v_dual_mul_f32 v104, 0xbf65296c, v84
	s_delay_alu instid0(VALU_DEP_4)
	v_dual_mul_f32 v93, 0xbf7ee86f, v27 :: v_dual_add_f32 v150, v40, v150
	v_dual_mul_f32 v91, 0xbf06c442, v26 :: v_dual_mul_f32 v4, 0xbf06c442, v41
	v_dual_mul_f32 v101, 0x3e3c28d5, v81 :: v_dual_add_f32 v154, v40, v154
	v_dual_mul_f32 v5, 0x3f65296c, v32 :: v_dual_add_f32 v156, v156, v157
	v_fmamk_f32 v152, v88, 0xbf1a4643, v102
	v_fmamk_f32 v158, v89, 0xbe8c1d8e, v130
	v_fma_f32 v157, 0x3ee437d1, v38, -v7
	v_fmac_f32_e32 v7, 0x3ee437d1, v38
	v_fmamk_f32 v155, v88, 0xbf7ba420, v22
	v_mul_f32_e32 v23, 0x3f06c442, v32
	v_dual_mul_f32 v103, 0xbf4c4adb, v83 :: v_dual_mul_f32 v120, 0xbf4c4adb, v26
	v_dual_mul_f32 v117, 0x3f763a35, v31 :: v_dual_add_f32 v150, v150, v152
	v_dual_mul_f32 v127, 0xbeb8f4ab, v27 :: v_dual_add_f32 v158, v40, v158
	v_fma_f32 v151, 0x3ee437d1, v39, -v104
	v_fma_f32 v160, 0xbe8c1d8e, v39, -v133
	v_fmamk_f32 v152, v89, 0xbf59a7d5, v4
	v_dual_mul_f32 v15, 0xbe3c28d5, v41 :: v_dual_add_f32 v154, v154, v155
	v_fmamk_f32 v159, v88, 0xbf59a7d5, v23
	v_dual_add_f32 v87, v71, v54 :: v_dual_sub_f32 v78, v68, v63
	v_dual_add_f32 v73, v66, v65 :: v_dual_mul_f32 v100, 0x3e3c28d5, v31
	v_dual_mul_f32 v122, 0xbf65296c, v80 :: v_dual_add_f32 v151, v44, v151
	v_dual_mul_f32 v9, 0xbf7ee86f, v81 :: v_dual_add_f32 v160, v44, v160
	;; [unrolled: 1-line block ×3, first 2 shown]
	v_fma_f32 v153, 0xbf1a4643, v38, -v103
	v_fma_f32 v161, 0xbf59a7d5, v38, -v129
	v_dual_add_f32 v152, v40, v152 :: v_dual_fmamk_f32 v159, v89, 0xbf7ba420, v15
	v_mul_f32_e32 v134, 0x3eb8f4ab, v32
	v_fma_f32 v15, 0xbf7ba420, v89, -v15
	v_dual_mul_f32 v109, 0xbf06c442, v78 :: v_dual_mul_f32 v6, 0xbf06c442, v84
	v_dual_mul_f32 v126, 0x3f7ee86f, v28 :: v_dual_add_f32 v151, v151, v153
	v_dual_mul_f32 v143, 0x3f2c7751, v80 :: v_dual_add_f32 v160, v160, v161
	v_add_f32_e32 v159, v40, v159
	v_fmamk_f32 v161, v88, 0x3f6eb680, v134
	v_fma_f32 v134, 0x3f6eb680, v88, -v134
	v_add_f32_e32 v15, v40, v15
	v_fma_f32 v155, 0xbf59a7d5, v39, -v6
	v_mul_f32_e32 v124, 0x3f7ee86f, v78
	v_fmac_f32_e32 v6, 0xbf59a7d5, v39
	v_dual_add_f32 v37, v51, v43 :: v_dual_mul_f32 v96, 0x3f2c7751, v29
	v_add_f32_e32 v15, v15, v134
	v_fmamk_f32 v134, v87, 0xbf7ba420, v100
	v_fmamk_f32 v153, v88, 0x3ee437d1, v5
	v_add_f32_e32 v155, v44, v155
	v_mul_f32_e32 v138, 0x3eb8f4ab, v83
	v_add_f32_e32 v6, v44, v6
	v_dual_add_f32 v134, v150, v134 :: v_dual_mul_f32 v145, 0xbf4c4adb, v79
	v_add_f32_e32 v152, v152, v153
	v_fma_f32 v153, 0xbf7ba420, v39, -v137
	v_add_f32_e32 v155, v155, v157
	v_fma_f32 v157, 0x3f6eb680, v38, -v138
	v_fmac_f32_e32 v137, 0xbf7ba420, v39
	s_delay_alu instid0(VALU_DEP_4) | instskip(SKIP_1) | instid1(VALU_DEP_3)
	v_dual_fmac_f32 v138, 0x3f6eb680, v38 :: v_dual_add_f32 v153, v44, v153
	v_dual_mul_f32 v99, 0x3f763a35, v80 :: v_dual_mul_f32 v112, 0x3f763a35, v81
	v_add_f32_e32 v137, v44, v137
	v_dual_mul_f32 v107, 0x3f2c7751, v26 :: v_dual_mul_f32 v132, 0x3f2c7751, v31
	s_delay_alu instid0(VALU_DEP_4) | instskip(SKIP_1) | instid1(VALU_DEP_4)
	v_add_f32_e32 v153, v153, v157
	v_fma_f32 v4, 0xbf59a7d5, v89, -v4
	v_add_f32_e32 v137, v137, v138
	v_fma_f32 v138, 0xbf7ba420, v37, -v101
	v_mul_f32_e32 v141, 0xbf06c442, v81
	v_fma_f32 v5, 0x3ee437d1, v88, -v5
	v_add_f32_e32 v4, v40, v4
	v_fma_f32 v150, 0xbe8c1d8e, v37, -v112
	v_add_f32_e32 v138, v151, v138
	v_fmamk_f32 v151, v87, 0x3f3d2fb0, v132
	v_dual_add_f32 v85, v69, v60 :: v_dual_add_f32 v34, v58, v50
	v_dual_mul_f32 v128, 0x3f2c7751, v81 :: v_dual_mul_f32 v21, 0x3f2c7751, v27
	v_dual_mul_f32 v147, 0x3f65296c, v78 :: v_dual_add_f32 v4, v4, v5
	v_dual_fmamk_f32 v5, v86, 0xbe8c1d8e, v98 :: v_dual_add_f32 v150, v156, v150
	v_dual_add_f32 v6, v6, v7 :: v_dual_fmamk_f32 v7, v87, 0xbe8c1d8e, v117
	v_dual_fmamk_f32 v156, v87, 0x3dbcf732, v8 :: v_dual_add_f32 v151, v158, v151
	v_fma_f32 v158, 0x3dbcf732, v37, -v9
	v_dual_mul_f32 v118, 0x3eb8f4ab, v30 :: v_dual_mul_f32 v111, 0x3eb8f4ab, v80
	v_dual_mul_f32 v116, 0xbf65296c, v29 :: v_dual_mul_f32 v131, 0xbf65296c, v30
	;; [unrolled: 1-line block ×3, first 2 shown]
	v_add_f32_e32 v159, v159, v161
	v_dual_mul_f32 v161, 0x3f7ee86f, v26 :: v_dual_add_f32 v152, v152, v156
	v_add_f32_e32 v7, v154, v7
	v_fma_f32 v154, 0x3f3d2fb0, v37, -v128
	v_fma_f32 v156, 0xbf59a7d5, v37, -v141
	v_add_f32_e32 v155, v155, v158
	v_fma_f32 v158, 0xbe8c1d8e, v36, -v99
	v_dual_mul_f32 v10, 0x3f4c4adb, v30 :: v_dual_mul_f32 v11, 0x3f4c4adb, v80
	v_add_f32_e32 v154, v160, v154
	v_fmamk_f32 v160, v87, 0xbf59a7d5, v140
	v_fma_f32 v140, 0xbf59a7d5, v87, -v140
	v_dual_add_f32 v153, v153, v156 :: v_dual_add_f32 v138, v138, v158
	v_fmamk_f32 v158, v86, 0x3ee437d1, v131
	v_add_f32_e32 v5, v134, v5
	v_fma_f32 v134, 0x3f6eb680, v36, -v111
	v_fmac_f32_e32 v141, 0xbf59a7d5, v37
	v_fma_f32 v8, 0x3dbcf732, v87, -v8
	v_add_f32_e32 v15, v15, v140
	v_mul_f32_e32 v157, 0x3f7ee86f, v82
	v_add_f32_e32 v134, v150, v134
	v_fmamk_f32 v150, v86, 0xbf1a4643, v10
	v_dual_add_f32 v4, v4, v8 :: v_dual_fmac_f32 v9, 0x3dbcf732, v37
	v_dual_add_f32 v159, v159, v160 :: v_dual_fmamk_f32 v8, v74, 0x3dbcf732, v93
	s_delay_alu instid0(VALU_DEP_3) | instskip(SKIP_1) | instid1(VALU_DEP_4)
	v_dual_add_f32 v150, v152, v150 :: v_dual_mul_f32 v135, 0x3f2c7751, v77
	v_mul_f32_e32 v142, 0x3f2c7751, v30
	v_add_f32_e32 v6, v6, v9
	v_fmamk_f32 v9, v86, 0x3f6eb680, v118
	v_fmamk_f32 v160, v85, 0x3f3d2fb0, v96
	v_add_f32_e32 v137, v137, v141
	v_add_f32_e32 v151, v151, v158
	v_fma_f32 v158, 0xbf1a4643, v36, -v11
	v_add_f32_e32 v7, v7, v9
	v_fma_f32 v9, 0x3ee437d1, v36, -v122
	v_fma_f32 v10, 0xbf1a4643, v86, -v10
	v_fmac_f32_e32 v11, 0xbf1a4643, v36
	v_fmamk_f32 v140, v76, 0x3f6eb680, v94
	v_fma_f32 v152, 0x3f3d2fb0, v36, -v143
	s_delay_alu instid0(VALU_DEP_4)
	v_dual_add_f32 v9, v154, v9 :: v_dual_add_f32 v4, v4, v10
	v_fmamk_f32 v154, v86, 0x3f3d2fb0, v142
	v_fma_f32 v142, 0x3f3d2fb0, v86, -v142
	v_dual_add_f32 v155, v155, v158 :: v_dual_add_f32 v162, v6, v11
	v_fmamk_f32 v10, v76, 0xbf59a7d5, v115
	v_fmamk_f32 v6, v85, 0xbf7ba420, v125
	v_fmac_f32_e32 v143, 0x3f3d2fb0, v36
	v_add_f32_e32 v15, v15, v142
	v_dual_mul_f32 v95, 0xbeb8f4ab, v78 :: v_dual_mul_f32 v12, 0xbeb8f4ab, v29
	v_dual_mul_f32 v113, 0x3f4c4adb, v27 :: v_dual_mul_f32 v108, 0x3f4c4adb, v77
	s_delay_alu instid0(VALU_DEP_4) | instskip(SKIP_4) | instid1(VALU_DEP_4)
	v_dual_add_f32 v6, v151, v6 :: v_dual_add_f32 v137, v137, v143
	v_fma_f32 v143, 0x3ee437d1, v35, -v110
	v_dual_mul_f32 v97, 0x3f2c7751, v79 :: v_dual_mul_f32 v106, 0x3f2c7751, v82
	v_dual_mul_f32 v123, 0xbe3c28d5, v79 :: v_dual_mul_f32 v20, 0xbe3c28d5, v78
	;; [unrolled: 1-line block ×3, first 2 shown]
	v_dual_add_f32 v134, v134, v143 :: v_dual_fmamk_f32 v143, v85, 0x3f6eb680, v12
	v_fma_f32 v12, 0x3f6eb680, v85, -v12
	v_dual_mul_f32 v119, 0xbf4c4adb, v82 :: v_dual_mul_f32 v144, 0xbf4c4adb, v29
	v_fma_f32 v156, 0x3f3d2fb0, v35, -v97
	v_add_f32_e32 v152, v153, v152
	v_add_f32_e32 v5, v5, v160
	v_fma_f32 v11, 0xbf7ba420, v35, -v123
	v_fma_f32 v151, 0x3f6eb680, v35, -v14
	v_dual_add_f32 v160, v4, v12 :: v_dual_add_f32 v143, v150, v143
	v_dual_fmamk_f32 v150, v76, 0x3dbcf732, v126 :: v_dual_add_f32 v33, v59, v57
	v_mul_f32_e32 v90, 0xbf06c442, v82
	v_fma_f32 v141, 0x3f6eb680, v34, -v95
	v_dual_add_f32 v154, v159, v154 :: v_dual_fmamk_f32 v159, v73, 0xbf59a7d5, v91
	v_add_f32_e32 v138, v138, v156
	v_fmamk_f32 v142, v85, 0x3ee437d1, v116
	v_fma_f32 v156, 0xbf59a7d5, v34, -v109
	v_add_f32_e32 v9, v9, v11
	v_fmamk_f32 v11, v85, 0xbf1a4643, v144
	v_add_f32_e32 v151, v155, v151
	v_fma_f32 v155, 0xbf1a4643, v35, -v145
	v_dual_fmac_f32 v145, 0xbf1a4643, v35 :: v_dual_add_f32 v6, v6, v150
	v_fma_f32 v150, 0xbf7ba420, v34, -v20
	v_dual_mul_f32 v136, 0xbf763a35, v26 :: v_dual_mul_f32 v149, 0xbf763a35, v77
	v_fma_f32 v158, 0x3dbcf732, v33, -v92
	v_dual_add_f32 v7, v7, v142 :: v_dual_add_f32 v152, v152, v155
	v_fmamk_f32 v142, v74, 0xbf1a4643, v113
	v_dual_add_f32 v138, v138, v141 :: v_dual_add_f32 v5, v5, v140
	v_fmamk_f32 v140, v73, 0xbf1a4643, v120
	v_dual_add_f32 v137, v137, v145 :: v_dual_add_f32 v150, v151, v150
	v_add_f32_e32 v134, v134, v156
	v_add_f32_e32 v11, v154, v11
	v_fma_f32 v154, 0x3dbcf732, v34, -v124
	v_fma_f32 v151, 0x3ee437d1, v34, -v147
	;; [unrolled: 1-line block ×4, first 2 shown]
	v_dual_fmamk_f32 v145, v74, 0x3f6eb680, v127 :: v_dual_fmac_f32 v14, 0x3f6eb680, v35
	v_fmamk_f32 v141, v76, 0xbf7ba420, v13
	v_dual_add_f32 v151, v152, v151 :: v_dual_add_f32 v138, v138, v158
	s_delay_alu instid0(VALU_DEP_3)
	v_dual_add_f32 v5, v5, v8 :: v_dual_add_f32 v14, v162, v14
	v_fma_f32 v8, 0xbe8c1d8e, v33, -v149
	v_dual_add_f32 v9, v9, v154 :: v_dual_fmamk_f32 v154, v76, 0x3ee437d1, v146
	v_fma_f32 v153, 0xbf59a7d5, v42, -v90
	v_dual_add_f32 v15, v15, v144 :: v_dual_fmamk_f32 v152, v73, 0xbe8c1d8e, v136
	v_fmamk_f32 v144, v73, 0x3f3d2fb0, v107
	v_fma_f32 v4, 0x3f6eb680, v33, -v121
	v_fma_f32 v12, 0x3f3d2fb0, v42, -v106
	v_dual_add_f32 v7, v7, v10 :: v_dual_fmamk_f32 v156, v73, 0x3dbcf732, v161
	v_fma_f32 v10, 0xbf1a4643, v42, -v119
	v_add_f32_e32 v11, v11, v154
	v_fma_f32 v154, 0x3f3d2fb0, v33, -v135
	v_fma_f32 v158, 0x3dbcf732, v73, -v161
	;; [unrolled: 1-line block ×3, first 2 shown]
	v_fmac_f32_e32 v147, 0x3ee437d1, v34
	v_dual_add_f32 v13, v134, v155 :: v_dual_fmac_f32 v20, 0xbf7ba420, v34
	v_add_f32_e32 v134, v6, v145
	v_add_f32_e32 v141, v143, v141
	v_fmamk_f32 v143, v74, 0x3f3d2fb0, v21
	v_dual_mul_f32 v139, 0xbf763a35, v82 :: v_dual_mul_f32 v148, 0xbf763a35, v27
	v_fma_f32 v146, 0x3ee437d1, v76, -v146
	v_dual_add_f32 v7, v7, v142 :: v_dual_add_f32 v20, v14, v20
	v_fma_f32 v142, 0x3dbcf732, v42, -v157
	v_dual_fmac_f32 v149, 0xbe8c1d8e, v33 :: v_dual_add_f32 v6, v13, v12
	v_add_f32_e32 v141, v141, v143
	v_dual_add_f32 v143, v150, v154 :: v_dual_add_f32 v150, v151, v8
	v_fma_f32 v21, 0x3f3d2fb0, v74, -v21
	v_fmac_f32_e32 v135, 0x3f3d2fb0, v33
	v_add_f32_e32 v145, v9, v4
	v_dual_add_f32 v9, v134, v140 :: v_dual_add_f32 v134, v160, v161
	v_dual_add_f32 v137, v137, v147 :: v_dual_add_f32 v12, v150, v142
	v_dual_add_f32 v15, v15, v146 :: v_dual_mul_f32 v140, 0xbf1a4643, v89
	v_fmac_f32_e32 v157, 0x3dbcf732, v42
	s_delay_alu instid0(VALU_DEP_4) | instskip(NEXT) | instid1(VALU_DEP_4)
	v_dual_add_f32 v21, v134, v21 :: v_dual_mul_f32 v134, 0xbe8c1d8e, v88
	v_add_f32_e32 v137, v137, v149
	v_fmamk_f32 v147, v74, 0xbe8c1d8e, v148
	v_add_f32_e32 v4, v138, v153
	v_dual_mul_f32 v142, 0xbf59a7d5, v86 :: v_dual_add_f32 v7, v7, v144
	s_delay_alu instid0(VALU_DEP_3)
	v_dual_add_f32 v14, v137, v157 :: v_dual_add_f32 v147, v11, v147
	v_fmamk_f32 v137, v41, 0x3f4c4adb, v140
	v_mul_f32_e32 v144, 0xbf4c4adb, v84
	v_fma_f32 v146, 0xbe8c1d8e, v42, -v139
	v_fma_f32 v148, 0xbe8c1d8e, v74, -v148
	v_add_f32_e32 v20, v20, v135
	v_dual_add_f32 v8, v145, v10 :: v_dual_add_f32 v135, v40, v137
	v_fmamk_f32 v137, v39, 0xbf1a4643, v144
	v_fma_f32 v132, 0x3f3d2fb0, v87, -v132
	v_mul_f32_e32 v145, 0x3f763a35, v83
	v_add_f32_e32 v15, v15, v148
	v_add_f32_e32 v5, v5, v159
	v_fma_f32 v148, 0xbe8c1d8e, v73, -v136
	v_fmamk_f32 v136, v32, 0xbf763a35, v134
	v_add_f32_e32 v10, v143, v146
	v_mul_f32_e32 v146, 0xbeb8f4ab, v81
	v_dual_add_f32 v137, v44, v137 :: v_dual_fmamk_f32 v138, v38, 0xbe8c1d8e, v145
	v_fmac_f32_e32 v122, 0x3ee437d1, v36
	v_dual_fmac_f32 v133, 0xbe8c1d8e, v39 :: v_dual_fmac_f32 v112, 0xbe8c1d8e, v37
	v_fmac_f32_e32 v129, 0xbf59a7d5, v38
	s_delay_alu instid0(VALU_DEP_4) | instskip(SKIP_3) | instid1(VALU_DEP_3)
	v_add_f32_e32 v137, v137, v138
	v_dual_fmamk_f32 v138, v37, 0x3f6eb680, v146 :: v_dual_add_f32 v13, v147, v156
	v_mul_f32_e32 v147, 0xbf06c442, v80
	v_add_f32_e32 v11, v141, v152
	v_dual_mul_f32 v141, 0x3f6eb680, v87 :: v_dual_add_f32 v138, v137, v138
	v_dual_add_f32 v133, v44, v133 :: v_dual_fmac_f32 v24, 0xbf7ba420, v38
	s_delay_alu instid0(VALU_DEP_4) | instskip(SKIP_2) | instid1(VALU_DEP_4)
	v_fmamk_f32 v150, v36, 0xbf59a7d5, v147
	v_fmac_f32_e32 v128, 0x3f3d2fb0, v37
	v_fma_f32 v114, 0x3dbcf732, v89, -v114
	v_dual_add_f32 v129, v133, v129 :: v_dual_fmac_f32 v104, 0x3ee437d1, v39
	s_delay_alu instid0(VALU_DEP_4) | instskip(SKIP_2) | instid1(VALU_DEP_4)
	v_add_f32_e32 v150, v138, v150
	v_dual_mul_f32 v138, 0xbf2c7751, v78 :: v_dual_add_f32 v135, v135, v136
	v_fmamk_f32 v136, v31, 0x3eb8f4ab, v141
	v_dual_mul_f32 v143, 0x3dbcf732, v85 :: v_dual_add_f32 v128, v129, v128
	v_add_f32_e32 v15, v15, v158
	s_delay_alu instid0(VALU_DEP_3) | instskip(SKIP_1) | instid1(VALU_DEP_4)
	v_dual_add_f32 v114, v40, v114 :: v_dual_add_f32 v135, v135, v136
	v_fmamk_f32 v136, v30, 0x3f06c442, v142
	v_add_f32_e32 v122, v128, v122
	v_fma_f32 v22, 0xbf7ba420, v88, -v22
	v_mul_f32_e32 v137, 0x3f7ee86f, v79
	v_fmac_f32_e32 v109, 0xbf59a7d5, v34
	v_add_f32_e32 v135, v135, v136
	v_mul_f32_e32 v136, 0x3f3d2fb0, v76
	v_fmac_f32_e32 v123, 0xbf7ba420, v35
	v_fmamk_f32 v149, v29, 0xbf7ee86f, v143
	v_fmac_f32_e32 v124, 0x3dbcf732, v34
	v_add_f32_e32 v22, v114, v22
	v_fmamk_f32 v152, v35, 0x3dbcf732, v137
	s_delay_alu instid0(VALU_DEP_4) | instskip(SKIP_2) | instid1(VALU_DEP_4)
	v_dual_add_f32 v122, v122, v123 :: v_dual_add_f32 v149, v135, v149
	v_fmamk_f32 v151, v28, 0x3f2c7751, v136
	v_fma_f32 v94, 0x3f6eb680, v76, -v94
	v_dual_fmac_f32 v25, 0x3dbcf732, v39 :: v_dual_add_f32 v150, v150, v152
	v_fma_f32 v114, 0xbe8c1d8e, v87, -v117
	v_add_f32_e32 v21, v21, v148
	v_add_f32_e32 v122, v122, v124
	;; [unrolled: 1-line block ×3, first 2 shown]
	v_fmac_f32_e32 v92, 0x3dbcf732, v33
	v_add_f32_e32 v25, v44, v25
	v_fmamk_f32 v151, v34, 0x3f3d2fb0, v138
	v_fmac_f32_e32 v139, 0xbe8c1d8e, v42
	v_fma_f32 v116, 0x3ee437d1, v85, -v116
	v_fma_f32 v115, 0xbf59a7d5, v76, -v115
	;; [unrolled: 1-line block ×3, first 2 shown]
	v_add_f32_e32 v150, v150, v151
	v_dual_add_f32 v20, v20, v139 :: v_dual_mul_f32 v139, 0xbe3c28d5, v77
	v_mul_f32_e32 v133, 0x3f65296c, v82
	v_fmac_f32_e32 v110, 0x3ee437d1, v35
	v_add_f32_e32 v114, v22, v114
	v_fma_f32 v118, 0x3f6eb680, v86, -v118
	v_fmamk_f32 v151, v33, 0xbf7ba420, v139
	v_dual_fmamk_f32 v129, v42, 0x3ee437d1, v133 :: v_dual_add_f32 v104, v44, v104
	v_fmac_f32_e32 v103, 0xbf1a4643, v38
	s_delay_alu instid0(VALU_DEP_4) | instskip(NEXT) | instid1(VALU_DEP_4)
	v_add_f32_e32 v114, v114, v118
	v_dual_add_f32 v150, v150, v151 :: v_dual_mul_f32 v135, 0xbf7ba420, v74
	v_fmac_f32_e32 v101, 0xbf7ba420, v37
	s_delay_alu instid0(VALU_DEP_4) | instskip(NEXT) | instid1(VALU_DEP_3)
	v_add_f32_e32 v103, v104, v103
	v_dual_fmac_f32 v99, 0xbe8c1d8e, v36 :: v_dual_add_f32 v22, v150, v129
	s_delay_alu instid0(VALU_DEP_4) | instskip(SKIP_1) | instid1(VALU_DEP_4)
	v_fmamk_f32 v149, v27, 0x3e3c28d5, v135
	v_fmac_f32_e32 v97, 0x3f3d2fb0, v35
	v_add_f32_e32 v101, v103, v101
	v_dual_fmac_f32 v95, 0x3f6eb680, v34 :: v_dual_add_f32 v114, v114, v116
	s_delay_alu instid0(VALU_DEP_4) | instskip(SKIP_1) | instid1(VALU_DEP_4)
	v_add_f32_e32 v148, v148, v149
	v_fma_f32 v149, 0xbe8c1d8e, v89, -v130
	v_dual_mul_f32 v130, 0x3ee437d1, v73 :: v_dual_add_f32 v99, v101, v99
	v_fma_f32 v96, 0x3f3d2fb0, v85, -v96
	v_fmac_f32_e32 v121, 0x3f6eb680, v33
	v_fma_f32 v23, 0xbf59a7d5, v88, -v23
	s_delay_alu instid0(VALU_DEP_4)
	v_fmamk_f32 v151, v26, 0xbf65296c, v130
	v_add_f32_e32 v97, v99, v97
	v_fma_f32 v105, 0x3ee437d1, v89, -v105
	v_add_f32_e32 v121, v122, v121
	v_fmac_f32_e32 v111, 0x3f6eb680, v36
	v_fma_f32 v99, 0x3dbcf732, v74, -v93
	v_add_f32_e32 v95, v97, v95
	v_fmac_f32_e32 v119, 0xbf1a4643, v42
	v_add_f32_e32 v149, v40, v149
	v_dual_add_f32 v105, v40, v105 :: v_dual_fmac_f32 v90, 0xbf59a7d5, v42
	s_delay_alu instid0(VALU_DEP_4)
	v_add_f32_e32 v92, v95, v92
	v_add_f32_e32 v116, v25, v24
	;; [unrolled: 1-line block ×3, first 2 shown]
	v_fma_f32 v102, 0xbf1a4643, v88, -v102
	v_mul_f32_e32 v97, 0x3f3d2fb0, v89
	v_fma_f32 v131, 0x3ee437d1, v86, -v131
	v_add_f32_e32 v112, v116, v112
	v_fma_f32 v125, 0xbf7ba420, v85, -v125
	v_add_f32_e32 v102, v105, v102
	v_fma_f32 v98, 0xbe8c1d8e, v86, -v98
	s_delay_alu instid0(VALU_DEP_4) | instskip(SKIP_1) | instid1(VALU_DEP_4)
	v_dual_fmac_f32 v108, 0xbf1a4643, v33 :: v_dual_add_f32 v111, v112, v111
	v_add_f32_e32 v149, v149, v23
	v_dual_add_f32 v23, v148, v151 :: v_dual_add_f32 v100, v102, v100
	v_fma_f32 v126, 0x3dbcf732, v76, -v126
	s_delay_alu instid0(VALU_DEP_4) | instskip(NEXT) | instid1(VALU_DEP_4)
	v_add_f32_e32 v104, v111, v110
	v_add_f32_e32 v132, v149, v132
	v_fma_f32 v123, 0x3f6eb680, v74, -v127
	v_add_f32_e32 v98, v100, v98
	v_add_f32_e32 v114, v114, v115
	v_fma_f32 v113, 0xbf1a4643, v74, -v113
	v_add_f32_e32 v131, v132, v131
	v_fma_f32 v118, 0xbf1a4643, v73, -v120
	;; [unrolled: 2-line block ×3, first 2 shown]
	v_add_f32_e32 v100, v114, v113
	v_add_f32_e32 v125, v131, v125
	v_fma_f32 v91, 0xbf59a7d5, v73, -v91
	v_dual_add_f32 v96, v96, v94 :: v_dual_mul_f32 v95, 0xbf2c7751, v84
	v_fmac_f32_e32 v106, 0x3f3d2fb0, v42
	s_delay_alu instid0(VALU_DEP_4) | instskip(SKIP_1) | instid1(VALU_DEP_4)
	v_add_f32_e32 v117, v125, v126
	v_add_f32_e32 v94, v100, v98
	;; [unrolled: 1-line block ×3, first 2 shown]
	v_mul_f32_e32 v100, 0xbf7ee86f, v83
	s_delay_alu instid0(VALU_DEP_4) | instskip(NEXT) | instid1(VALU_DEP_3)
	v_dual_add_f32 v102, v104, v109 :: v_dual_add_f32 v117, v117, v123
	v_dual_mul_f32 v104, 0xbf4c4adb, v81 :: v_dual_add_f32 v91, v96, v91
	v_mul_f32_e32 v112, 0x3f65296c, v77
	s_delay_alu instid0(VALU_DEP_3) | instskip(SKIP_2) | instid1(VALU_DEP_3)
	v_dual_fmamk_f32 v96, v39, 0x3f3d2fb0, v95 :: v_dual_add_f32 v25, v117, v118
	v_dual_fmamk_f32 v103, v38, 0x3dbcf732, v100 :: v_dual_add_f32 v90, v92, v90
	v_add_f32_e32 v75, v40, v75
	v_add_f32_e32 v96, v44, v96
	;; [unrolled: 1-line block ×3, first 2 shown]
	v_fmac_f32_e32 v141, 0xbeb8f4ab, v31
	v_fmac_f32_e32 v136, 0xbf2c7751, v28
	v_add_f32_e32 v72, v75, v72
	v_dual_add_f32 v96, v96, v103 :: v_dual_fmamk_f32 v103, v37, 0xbf1a4643, v104
	v_dual_add_f32 v101, v102, v108 :: v_dual_mul_f32 v108, 0x3f06c442, v79
	v_mul_f32_e32 v75, 0xbf1a4643, v76
	s_delay_alu instid0(VALU_DEP_3) | instskip(NEXT) | instid1(VALU_DEP_3)
	v_dual_add_f32 v47, v47, v48 :: v_dual_add_f32 v96, v96, v103
	v_dual_add_f32 v93, v101, v106 :: v_dual_mul_f32 v106, 0xbe3c28d5, v80
	v_add_f32_e32 v71, v72, v71
	s_delay_alu instid0(VALU_DEP_3) | instskip(SKIP_1) | instid1(VALU_DEP_4)
	v_dual_fmamk_f32 v72, v28, 0x3f4c4adb, v75 :: v_dual_add_f32 v47, v47, v51
	v_mul_f32_e32 v110, 0x3f763a35, v78
	v_fmamk_f32 v103, v36, 0xbf7ba420, v106
	v_fmac_f32_e32 v142, 0xbf06c442, v30
	s_delay_alu instid0(VALU_DEP_4) | instskip(NEXT) | instid1(VALU_DEP_3)
	v_dual_mul_f32 v102, 0xbf1a4643, v87 :: v_dual_add_f32 v47, v47, v53
	v_dual_mul_f32 v51, 0xbf7ee86f, v80 :: v_dual_add_f32 v96, v96, v103
	v_fmamk_f32 v103, v35, 0xbf59a7d5, v108
	v_mul_f32_e32 v99, 0x3dbcf732, v88
	s_delay_alu instid0(VALU_DEP_4) | instskip(NEXT) | instid1(VALU_DEP_3)
	v_dual_add_f32 v47, v47, v55 :: v_dual_fmamk_f32 v98, v41, 0x3f2c7751, v97
	v_dual_mul_f32 v105, 0xbf7ba420, v86 :: v_dual_add_f32 v96, v96, v103
	s_delay_alu instid0(VALU_DEP_3) | instskip(NEXT) | instid1(VALU_DEP_3)
	v_fmamk_f32 v101, v32, 0x3f7ee86f, v99
	v_add_f32_e32 v47, v47, v58
	s_delay_alu instid0(VALU_DEP_4) | instskip(SKIP_2) | instid1(VALU_DEP_3)
	v_dual_add_f32 v98, v40, v98 :: v_dual_fmamk_f32 v103, v34, 0xbe8c1d8e, v110
	v_fmac_f32_e32 v143, 0x3f7ee86f, v29
	v_fmamk_f32 v53, v36, 0x3dbcf732, v51
	v_dual_add_f32 v47, v47, v59 :: v_dual_add_f32 v98, v98, v101
	s_delay_alu instid0(VALU_DEP_4) | instskip(SKIP_1) | instid1(VALU_DEP_3)
	v_dual_fmamk_f32 v101, v31, 0x3f4c4adb, v102 :: v_dual_add_f32 v96, v96, v103
	v_fmamk_f32 v103, v33, 0x3ee437d1, v112
	v_add_f32_e32 v47, v47, v62
	v_mul_f32_e32 v107, 0xbf59a7d5, v85
	s_delay_alu instid0(VALU_DEP_4) | instskip(NEXT) | instid1(VALU_DEP_4)
	v_add_f32_e32 v98, v98, v101
	v_dual_fmamk_f32 v101, v30, 0x3e3c28d5, v105 :: v_dual_add_f32 v96, v96, v103
	s_delay_alu instid0(VALU_DEP_4) | instskip(SKIP_1) | instid1(VALU_DEP_3)
	v_add_f32_e32 v47, v47, v61
	v_mul_f32_e32 v109, 0xbe8c1d8e, v76
	v_dual_mul_f32 v115, 0x3eb8f4ab, v82 :: v_dual_add_f32 v98, v98, v101
	v_fmamk_f32 v101, v29, 0xbf06c442, v107
	s_delay_alu instid0(VALU_DEP_4)
	v_add_f32_e32 v47, v57, v47
	v_mul_f32_e32 v103, 0xbe8c1d8e, v85
	v_mul_f32_e32 v114, 0x3f6eb680, v73
	v_add_f32_e32 v70, v71, v70
	v_add_f32_e32 v98, v98, v101
	;; [unrolled: 1-line block ×3, first 2 shown]
	v_mul_f32_e32 v83, 0xbf2c7751, v83
	v_fmamk_f32 v101, v28, 0xbf763a35, v109
	v_dual_fmamk_f32 v85, v26, 0xbeb8f4ab, v114 :: v_dual_mul_f32 v116, 0xbeb8f4ab, v84
	s_delay_alu instid0(VALU_DEP_4)
	v_add_f32_e32 v46, v46, v50
	v_fma_f32 v50, 0xbf1a4643, v39, -v144
	v_mul_f32_e32 v81, 0xbf65296c, v81
	v_add_f32_e32 v92, v98, v101
	v_mul_f32_e32 v89, 0x3f6eb680, v89
	v_add_f32_e32 v45, v45, v46
	v_add_f32_e32 v46, v44, v50
	v_dual_mul_f32 v111, 0x3ee437d1, v74 :: v_dual_fmamk_f32 v76, v37, 0x3ee437d1, v81
	v_mul_f32_e32 v87, 0x3ee437d1, v87
	v_dual_add_f32 v69, v70, v69 :: v_dual_fmac_f32 v134, 0x3f763a35, v32
	s_delay_alu instid0(VALU_DEP_3) | instskip(SKIP_2) | instid1(VALU_DEP_4)
	v_fmamk_f32 v98, v27, 0xbf65296c, v111
	v_mul_f32_e32 v71, 0xbf763a35, v79
	v_dual_mul_f32 v55, 0xbf4c4adb, v78 :: v_dual_fmac_f32 v140, 0xbf4c4adb, v41
	v_add_f32_e32 v68, v69, v68
	s_delay_alu instid0(VALU_DEP_4)
	v_add_f32_e32 v92, v92, v98
	v_mul_f32_e32 v86, 0x3dbcf732, v86
	v_fmac_f32_e32 v97, 0xbf2c7751, v41
	v_fmac_f32_e32 v135, 0xbe3c28d5, v27
	v_dual_add_f32 v67, v68, v67 :: v_dual_fmac_f32 v130, 0x3f65296c, v26
	v_dual_add_f32 v85, v92, v85 :: v_dual_fmamk_f32 v92, v39, 0x3f6eb680, v116
	v_fmamk_f32 v113, v41, 0x3eb8f4ab, v89
	v_mul_f32_e32 v88, 0x3f3d2fb0, v88
	v_mul_f32_e32 v59, 0xbf06c442, v77
	v_fmac_f32_e32 v102, 0xbf4c4adb, v31
	v_add_f32_e32 v92, v44, v92
	v_add_f32_e32 v101, v40, v113
	v_fmamk_f32 v113, v32, 0x3f2c7751, v88
	v_fmamk_f32 v62, v33, 0xbf59a7d5, v59
	v_fma_f32 v50, 0xbe8c1d8e, v38, -v145
	v_fmac_f32_e32 v89, 0xbeb8f4ab, v41
	v_fma_f32 v41, 0xbf7ba420, v36, -v106
	v_add_f32_e32 v101, v101, v113
	v_fmamk_f32 v113, v31, 0x3f65296c, v87
	v_fmac_f32_e32 v88, 0xbf2c7751, v32
	v_mul_f32_e32 v58, 0xbf59a7d5, v74
	v_fmac_f32_e32 v99, 0xbf7ee86f, v32
	s_delay_alu instid0(VALU_DEP_4)
	v_dual_fmac_f32 v105, 0xbe3c28d5, v30 :: v_dual_add_f32 v98, v101, v113
	v_fmamk_f32 v101, v30, 0x3f7ee86f, v86
	v_fmamk_f32 v113, v42, 0x3f6eb680, v115
	v_fmac_f32_e32 v86, 0xbf7ee86f, v30
	v_fmac_f32_e32 v114, 0x3eb8f4ab, v26
	v_fmamk_f32 v68, v27, 0x3f06c442, v58
	v_dual_add_f32 v98, v98, v101 :: v_dual_fmamk_f32 v101, v29, 0x3f763a35, v103
	v_add_f32_e32 v84, v96, v113
	v_fmac_f32_e32 v58, 0xbf06c442, v27
	v_fmac_f32_e32 v107, 0x3f06c442, v29
	s_delay_alu instid0(VALU_DEP_4) | instskip(SKIP_2) | instid1(VALU_DEP_3)
	v_dual_fmac_f32 v109, 0x3f763a35, v28 :: v_dual_add_f32 v96, v98, v101
	v_fmamk_f32 v98, v38, 0x3f3d2fb0, v83
	v_fmac_f32_e32 v111, 0x3f65296c, v27
	v_dual_fmac_f32 v103, 0xbf763a35, v29 :: v_dual_add_f32 v72, v96, v72
	s_delay_alu instid0(VALU_DEP_3) | instskip(SKIP_1) | instid1(VALU_DEP_2)
	v_dual_add_f32 v48, v92, v98 :: v_dual_fmac_f32 v87, 0xbf65296c, v31
	v_fma_f32 v31, 0xbf59a7d5, v35, -v108
	v_add_f32_e32 v48, v48, v76
	s_delay_alu instid0(VALU_DEP_1) | instskip(NEXT) | instid1(VALU_DEP_1)
	v_dual_add_f32 v48, v48, v53 :: v_dual_fmamk_f32 v53, v35, 0xbe8c1d8e, v71
	v_dual_add_f32 v48, v48, v53 :: v_dual_fmamk_f32 v53, v34, 0xbf1a4643, v55
	s_delay_alu instid0(VALU_DEP_1) | instskip(SKIP_3) | instid1(VALU_DEP_4)
	v_dual_add_f32 v48, v48, v53 :: v_dual_add_f32 v53, v67, v66
	v_mul_f32_e32 v66, 0xbf7ba420, v73
	v_add_f32_e32 v43, v43, v45
	v_add_f32_e32 v45, v46, v50
	;; [unrolled: 1-line block ×3, first 2 shown]
	v_dual_add_f32 v53, v53, v65 :: v_dual_mul_f32 v62, 0xbe3c28d5, v82
	v_fma_f32 v46, 0x3f6eb680, v37, -v146
	v_fmamk_f32 v48, v26, 0x3e3c28d5, v66
	s_delay_alu instid0(VALU_DEP_3) | instskip(NEXT) | instid1(VALU_DEP_4)
	v_dual_fmac_f32 v66, 0xbe3c28d5, v26 :: v_dual_add_f32 v53, v64, v53
	v_fmamk_f32 v57, v42, 0xbf7ba420, v62
	v_add_f32_e32 v19, v19, v43
	v_add_f32_e32 v43, v45, v46
	v_fma_f32 v45, 0xbf59a7d5, v36, -v147
	v_add_f32_e32 v53, v63, v53
	v_add_f32_e32 v63, v40, v140
	;; [unrolled: 1-line block ×3, first 2 shown]
	s_delay_alu instid0(VALU_DEP_4) | instskip(NEXT) | instid1(VALU_DEP_4)
	v_add_f32_e32 v43, v43, v45
	v_add_f32_e32 v53, v60, v53
	s_delay_alu instid0(VALU_DEP_4) | instskip(SKIP_1) | instid1(VALU_DEP_3)
	v_add_f32_e32 v57, v63, v134
	v_fma_f32 v45, 0x3dbcf732, v35, -v137
	v_add_f32_e32 v53, v56, v53
	s_delay_alu instid0(VALU_DEP_3) | instskip(NEXT) | instid1(VALU_DEP_3)
	v_add_f32_e32 v56, v57, v141
	v_add_f32_e32 v43, v43, v45
	;; [unrolled: 1-line block ×3, first 2 shown]
	v_fmac_f32_e32 v75, 0xbf4c4adb, v28
	s_delay_alu instid0(VALU_DEP_4) | instskip(SKIP_1) | instid1(VALU_DEP_2)
	v_dual_add_f32 v53, v54, v53 :: v_dual_add_f32 v50, v56, v142
	v_fma_f32 v28, 0x3ee437d1, v33, -v112
	v_add_f32_e32 v52, v52, v53
	s_delay_alu instid0(VALU_DEP_3) | instskip(SKIP_1) | instid1(VALU_DEP_3)
	v_add_f32_e32 v50, v50, v143
	v_fma_f32 v53, 0x3ee437d1, v42, -v133
	v_add_f32_e32 v46, v49, v52
	s_delay_alu instid0(VALU_DEP_3) | instskip(SKIP_2) | instid1(VALU_DEP_3)
	v_dual_add_f32 v49, v50, v136 :: v_dual_add_f32 v50, v40, v97
	v_fma_f32 v52, 0x3f3d2fb0, v34, -v138
	v_add_f32_e32 v40, v40, v89
	v_add_f32_e32 v0, v49, v135
	s_delay_alu instid0(VALU_DEP_4) | instskip(NEXT) | instid1(VALU_DEP_4)
	v_add_f32_e32 v19, v50, v99
	v_add_f32_e32 v43, v43, v52
	v_fma_f32 v49, 0xbf7ba420, v33, -v139
	v_fma_f32 v50, 0x3f3d2fb0, v39, -v95
	;; [unrolled: 1-line block ×3, first 2 shown]
	v_add_f32_e32 v19, v19, v102
	v_fma_f32 v39, 0x3f6eb680, v39, -v116
	v_add_f32_e32 v43, v43, v49
	v_add_f32_e32 v49, v44, v50
	s_delay_alu instid0(VALU_DEP_4) | instskip(NEXT) | instid1(VALU_DEP_4)
	v_dual_add_f32 v50, v0, v130 :: v_dual_add_f32 v19, v19, v105
	v_add_f32_e32 v32, v44, v39
	v_fma_f32 v38, 0x3f3d2fb0, v38, -v83
	s_delay_alu instid0(VALU_DEP_4)
	v_add_f32_e32 v0, v49, v52
	v_fma_f32 v52, 0xbf1a4643, v37, -v104
	v_add_f32_e32 v19, v19, v107
	v_fma_f32 v37, 0x3ee437d1, v37, -v81
	v_add_f32_e32 v32, v32, v38
	v_add_f32_e32 v39, v40, v88
	s_delay_alu instid0(VALU_DEP_4) | instskip(SKIP_1) | instid1(VALU_DEP_4)
	v_dual_add_f32 v0, v0, v52 :: v_dual_add_f32 v19, v19, v109
	v_add_f32_e32 v67, v72, v68
	v_add_f32_e32 v30, v32, v37
	s_delay_alu instid0(VALU_DEP_4) | instskip(NEXT) | instid1(VALU_DEP_4)
	v_add_f32_e32 v38, v39, v87
	v_add_f32_e32 v0, v0, v41
	v_fma_f32 v32, 0xbe8c1d8e, v34, -v110
	v_add_f32_e32 v29, v19, v111
	v_add_f32_e32 v48, v67, v48
	s_delay_alu instid0(VALU_DEP_4) | instskip(SKIP_2) | instid1(VALU_DEP_2)
	v_dual_add_f32 v49, v43, v53 :: v_dual_add_f32 v0, v0, v31
	v_fma_f32 v31, 0x3dbcf732, v36, -v51
	v_add_f32_e32 v36, v38, v86
	v_dual_add_f32 v0, v0, v32 :: v_dual_add_f32 v19, v30, v31
	v_fma_f32 v30, 0xbe8c1d8e, v35, -v71
	s_delay_alu instid0(VALU_DEP_3) | instskip(NEXT) | instid1(VALU_DEP_3)
	v_add_f32_e32 v31, v36, v103
	v_add_f32_e32 v27, v0, v28
	v_fma_f32 v28, 0x3f6eb680, v42, -v115
	s_delay_alu instid0(VALU_DEP_4) | instskip(SKIP_2) | instid1(VALU_DEP_2)
	v_add_f32_e32 v19, v19, v30
	v_fma_f32 v30, 0xbf1a4643, v34, -v55
	v_add_f32_e32 v31, v31, v75
	v_add_f32_e32 v0, v19, v30
	v_fma_f32 v19, 0xbf59a7d5, v33, -v59
	s_delay_alu instid0(VALU_DEP_3) | instskip(NEXT) | instid1(VALU_DEP_2)
	v_add_f32_e32 v30, v31, v58
	v_dual_add_f32 v26, v0, v19 :: v_dual_mov_b32 v19, v1
	v_lshlrev_b64_e32 v[0:1], 3, v[16:17]
	v_add_co_u32 v16, vcc_lo, s6, v2
	s_wait_alu 0xfffd
	v_add_co_ci_u32_e32 v17, vcc_lo, s7, v3, vcc_lo
	v_lshlrev_b64_e32 v[2:3], 3, v[18:19]
	s_delay_alu instid0(VALU_DEP_3) | instskip(SKIP_1) | instid1(VALU_DEP_3)
	v_add_co_u32 v0, vcc_lo, v16, v0
	s_wait_alu 0xfffd
	v_add_co_ci_u32_e32 v1, vcc_lo, v17, v1, vcc_lo
	v_fma_f32 v16, 0xbf7ba420, v42, -v62
	s_delay_alu instid0(VALU_DEP_3) | instskip(SKIP_1) | instid1(VALU_DEP_3)
	v_add_co_u32 v0, vcc_lo, v0, v2
	s_wait_alu 0xfffd
	v_add_co_ci_u32_e32 v1, vcc_lo, v1, v3, vcc_lo
	v_dual_add_f32 v3, v29, v114 :: v_dual_add_f32 v2, v27, v28
	v_add_f32_e32 v17, v30, v66
	v_add_f32_e32 v16, v26, v16
	s_clause 0x10
	global_store_b64 v[0:1], v[45:46], off
	global_store_b64 v[0:1], v[47:48], off offset:416
	global_store_b64 v[0:1], v[84:85], off offset:832
	global_store_b64 v[0:1], v[90:91], off offset:1248
	global_store_b64 v[0:1], v[93:94], off offset:1664
	global_store_b64 v[0:1], v[24:25], off offset:2080
	global_store_b64 v[0:1], v[22:23], off offset:2496
	global_store_b64 v[0:1], v[20:21], off offset:2912
	global_store_b64 v[0:1], v[14:15], off offset:3328
	global_store_b64 v[0:1], v[12:13], off offset:3744
	global_store_b64 v[0:1], v[10:11], off offset:4160
	global_store_b64 v[0:1], v[49:50], off offset:4576
	global_store_b64 v[0:1], v[8:9], off offset:4992
	global_store_b64 v[0:1], v[6:7], off offset:5408
	global_store_b64 v[0:1], v[4:5], off offset:5824
	global_store_b64 v[0:1], v[2:3], off offset:6240
	global_store_b64 v[0:1], v[16:17], off offset:6656
.LBB0_26:
	s_nop 0
	s_sendmsg sendmsg(MSG_DEALLOC_VGPRS)
	s_endpgm
	.section	.rodata,"a",@progbits
	.p2align	6, 0x0
	.amdhsa_kernel fft_rtc_back_len884_factors_13_4_17_wgs_204_tpt_68_halfLds_sp_op_CI_CI_unitstride_sbrr_dirReg
		.amdhsa_group_segment_fixed_size 0
		.amdhsa_private_segment_fixed_size 0
		.amdhsa_kernarg_size 104
		.amdhsa_user_sgpr_count 2
		.amdhsa_user_sgpr_dispatch_ptr 0
		.amdhsa_user_sgpr_queue_ptr 0
		.amdhsa_user_sgpr_kernarg_segment_ptr 1
		.amdhsa_user_sgpr_dispatch_id 0
		.amdhsa_user_sgpr_private_segment_size 0
		.amdhsa_wavefront_size32 1
		.amdhsa_uses_dynamic_stack 0
		.amdhsa_enable_private_segment 0
		.amdhsa_system_sgpr_workgroup_id_x 1
		.amdhsa_system_sgpr_workgroup_id_y 0
		.amdhsa_system_sgpr_workgroup_id_z 0
		.amdhsa_system_sgpr_workgroup_info 0
		.amdhsa_system_vgpr_workitem_id 0
		.amdhsa_next_free_vgpr 163
		.amdhsa_next_free_sgpr 39
		.amdhsa_reserve_vcc 1
		.amdhsa_float_round_mode_32 0
		.amdhsa_float_round_mode_16_64 0
		.amdhsa_float_denorm_mode_32 3
		.amdhsa_float_denorm_mode_16_64 3
		.amdhsa_fp16_overflow 0
		.amdhsa_workgroup_processor_mode 1
		.amdhsa_memory_ordered 1
		.amdhsa_forward_progress 0
		.amdhsa_round_robin_scheduling 0
		.amdhsa_exception_fp_ieee_invalid_op 0
		.amdhsa_exception_fp_denorm_src 0
		.amdhsa_exception_fp_ieee_div_zero 0
		.amdhsa_exception_fp_ieee_overflow 0
		.amdhsa_exception_fp_ieee_underflow 0
		.amdhsa_exception_fp_ieee_inexact 0
		.amdhsa_exception_int_div_zero 0
	.end_amdhsa_kernel
	.text
.Lfunc_end0:
	.size	fft_rtc_back_len884_factors_13_4_17_wgs_204_tpt_68_halfLds_sp_op_CI_CI_unitstride_sbrr_dirReg, .Lfunc_end0-fft_rtc_back_len884_factors_13_4_17_wgs_204_tpt_68_halfLds_sp_op_CI_CI_unitstride_sbrr_dirReg
                                        ; -- End function
	.section	.AMDGPU.csdata,"",@progbits
; Kernel info:
; codeLenInByte = 12944
; NumSgprs: 41
; NumVgprs: 163
; ScratchSize: 0
; MemoryBound: 0
; FloatMode: 240
; IeeeMode: 1
; LDSByteSize: 0 bytes/workgroup (compile time only)
; SGPRBlocks: 5
; VGPRBlocks: 20
; NumSGPRsForWavesPerEU: 41
; NumVGPRsForWavesPerEU: 163
; Occupancy: 9
; WaveLimiterHint : 1
; COMPUTE_PGM_RSRC2:SCRATCH_EN: 0
; COMPUTE_PGM_RSRC2:USER_SGPR: 2
; COMPUTE_PGM_RSRC2:TRAP_HANDLER: 0
; COMPUTE_PGM_RSRC2:TGID_X_EN: 1
; COMPUTE_PGM_RSRC2:TGID_Y_EN: 0
; COMPUTE_PGM_RSRC2:TGID_Z_EN: 0
; COMPUTE_PGM_RSRC2:TIDIG_COMP_CNT: 0
	.text
	.p2alignl 7, 3214868480
	.fill 96, 4, 3214868480
	.type	__hip_cuid_350eeb67e07ea4e0,@object ; @__hip_cuid_350eeb67e07ea4e0
	.section	.bss,"aw",@nobits
	.globl	__hip_cuid_350eeb67e07ea4e0
__hip_cuid_350eeb67e07ea4e0:
	.byte	0                               ; 0x0
	.size	__hip_cuid_350eeb67e07ea4e0, 1

	.ident	"AMD clang version 19.0.0git (https://github.com/RadeonOpenCompute/llvm-project roc-6.4.0 25133 c7fe45cf4b819c5991fe208aaa96edf142730f1d)"
	.section	".note.GNU-stack","",@progbits
	.addrsig
	.addrsig_sym __hip_cuid_350eeb67e07ea4e0
	.amdgpu_metadata
---
amdhsa.kernels:
  - .args:
      - .actual_access:  read_only
        .address_space:  global
        .offset:         0
        .size:           8
        .value_kind:     global_buffer
      - .offset:         8
        .size:           8
        .value_kind:     by_value
      - .actual_access:  read_only
        .address_space:  global
        .offset:         16
        .size:           8
        .value_kind:     global_buffer
      - .actual_access:  read_only
        .address_space:  global
        .offset:         24
        .size:           8
        .value_kind:     global_buffer
      - .actual_access:  read_only
        .address_space:  global
        .offset:         32
        .size:           8
        .value_kind:     global_buffer
      - .offset:         40
        .size:           8
        .value_kind:     by_value
      - .actual_access:  read_only
        .address_space:  global
        .offset:         48
        .size:           8
        .value_kind:     global_buffer
      - .actual_access:  read_only
        .address_space:  global
        .offset:         56
        .size:           8
        .value_kind:     global_buffer
      - .offset:         64
        .size:           4
        .value_kind:     by_value
      - .actual_access:  read_only
        .address_space:  global
        .offset:         72
        .size:           8
        .value_kind:     global_buffer
      - .actual_access:  read_only
        .address_space:  global
        .offset:         80
        .size:           8
        .value_kind:     global_buffer
      - .actual_access:  read_only
        .address_space:  global
        .offset:         88
        .size:           8
        .value_kind:     global_buffer
      - .actual_access:  write_only
        .address_space:  global
        .offset:         96
        .size:           8
        .value_kind:     global_buffer
    .group_segment_fixed_size: 0
    .kernarg_segment_align: 8
    .kernarg_segment_size: 104
    .language:       OpenCL C
    .language_version:
      - 2
      - 0
    .max_flat_workgroup_size: 204
    .name:           fft_rtc_back_len884_factors_13_4_17_wgs_204_tpt_68_halfLds_sp_op_CI_CI_unitstride_sbrr_dirReg
    .private_segment_fixed_size: 0
    .sgpr_count:     41
    .sgpr_spill_count: 0
    .symbol:         fft_rtc_back_len884_factors_13_4_17_wgs_204_tpt_68_halfLds_sp_op_CI_CI_unitstride_sbrr_dirReg.kd
    .uniform_work_group_size: 1
    .uses_dynamic_stack: false
    .vgpr_count:     163
    .vgpr_spill_count: 0
    .wavefront_size: 32
    .workgroup_processor_mode: 1
amdhsa.target:   amdgcn-amd-amdhsa--gfx1201
amdhsa.version:
  - 1
  - 2
...

	.end_amdgpu_metadata
